;; amdgpu-corpus repo=amd/amd-lab-notes kind=compiled arch=gfx90a opt=O3
	.text
	.amdgcn_target "amdgcn-amd-amdhsa--gfx90a"
	.amdhsa_code_object_version 6
	.protected	_Z14ellpack_kerneliiPKiPKdS2_Pddd ; -- Begin function _Z14ellpack_kerneliiPKiPKdS2_Pddd
	.globl	_Z14ellpack_kerneliiPKiPKdS2_Pddd
	.p2align	8
	.type	_Z14ellpack_kerneliiPKiPKdS2_Pddd,@function
_Z14ellpack_kerneliiPKiPKdS2_Pddd:      ; @_Z14ellpack_kerneliiPKiPKdS2_Pddd
; %bb.0:
	s_load_dword s2, s[4:5], 0x44
	s_load_dwordx2 s[0:1], s[4:5], 0x0
	s_waitcnt lgkmcnt(0)
	s_and_b32 s2, s2, 0xffff
	s_mul_i32 s6, s6, s2
	v_add_u32_e32 v0, s6, v0
	v_cmp_gt_i32_e32 vcc, s0, v0
	s_and_saveexec_b64 s[2:3], vcc
	s_cbranch_execz .LBB0_10
; %bb.1:
	s_mul_i32 s16, s1, s0
	v_cmp_le_i32_e32 vcc, s16, v0
	v_ashrrev_i32_e32 v1, 31, v0
                                        ; implicit-def: $sgpr8_sgpr9
                                        ; implicit-def: $vgpr2_vgpr3
	s_and_saveexec_b64 s[2:3], vcc
	s_xor_b64 s[2:3], exec, s[2:3]
; %bb.2:
	s_mov_b64 s[8:9], 0
	v_pk_mov_b32 v[2:3], v[0:1], v[0:1] op_sel:[0,1]
                                        ; implicit-def: $vgpr0
; %bb.3:
	s_or_saveexec_b64 s[2:3], s[2:3]
	s_load_dwordx2 s[6:7], s[4:5], 0x20
	v_pk_mov_b32 v[4:5], s[8:9], s[8:9] op_sel:[0,1]
	s_xor_b64 exec, exec, s[2:3]
	s_cbranch_execz .LBB0_7
; %bb.4:
	s_load_dwordx4 s[12:15], s[4:5], 0x8
	s_load_dwordx2 s[8:9], s[4:5], 0x18
	v_lshlrev_b64 v[4:5], 3, v[0:1]
	s_ashr_i32 s1, s0, 31
	v_pk_mov_b32 v[2:3], v[0:1], v[0:1] op_sel:[0,1]
	s_waitcnt lgkmcnt(0)
	v_mov_b32_e32 v7, s15
	v_add_co_u32_e32 v6, vcc, s14, v4
	v_addc_co_u32_e32 v7, vcc, v7, v5, vcc
	v_lshlrev_b64 v[4:5], 2, v[0:1]
	s_lshl_b64 s[10:11], s[0:1], 3
	v_mov_b32_e32 v1, s13
	v_add_co_u32_e32 v8, vcc, s12, v4
	s_lshl_b64 s[14:15], s[0:1], 2
	v_addc_co_u32_e32 v9, vcc, v1, v5, vcc
	s_mov_b64 s[12:13], 0
	v_pk_mov_b32 v[4:5], 0, 0
	v_mov_b32_e32 v1, s9
	v_mov_b32_e32 v10, s11
	;; [unrolled: 1-line block ×3, first 2 shown]
.LBB0_5:                                ; =>This Inner Loop Header: Depth=1
	global_load_dword v12, v[8:9], off
	global_load_dwordx2 v[14:15], v[6:7], off
	v_add_u32_e32 v0, s0, v0
	s_waitcnt vmcnt(1)
	v_ashrrev_i32_e32 v13, 31, v12
	v_lshlrev_b64 v[12:13], 3, v[12:13]
	v_add_co_u32_e32 v12, vcc, s8, v12
	v_addc_co_u32_e32 v13, vcc, v1, v13, vcc
	global_load_dwordx2 v[12:13], v[12:13], off
	v_add_co_u32_e32 v6, vcc, s10, v6
	v_addc_co_u32_e32 v7, vcc, v7, v10, vcc
	v_add_co_u32_e32 v8, vcc, s14, v8
	v_addc_co_u32_e32 v9, vcc, v9, v11, vcc
	v_cmp_le_i32_e32 vcc, s16, v0
	s_or_b64 s[12:13], vcc, s[12:13]
	s_waitcnt vmcnt(0)
	v_fmac_f64_e32 v[4:5], v[14:15], v[12:13]
	s_andn2_b64 exec, exec, s[12:13]
	s_cbranch_execnz .LBB0_5
; %bb.6:
	s_or_b64 exec, exec, s[12:13]
.LBB0_7:
	s_or_b64 exec, exec, s[2:3]
	s_load_dwordx4 s[0:3], s[4:5], 0x28
	v_lshlrev_b64 v[2:3], 3, v[2:3]
	s_waitcnt lgkmcnt(0)
	v_mov_b32_e32 v6, s7
	v_add_co_u32_e32 v2, vcc, s6, v2
	v_cmp_neq_f64_e64 s[4:5], s[2:3], 0
	v_addc_co_u32_e32 v3, vcc, v6, v3, vcc
	v_mul_f64 v[0:1], v[4:5], s[0:1]
	s_and_b64 vcc, exec, s[4:5]
	s_cbranch_vccz .LBB0_9
; %bb.8:
	global_load_dwordx2 v[4:5], v[2:3], off
	s_waitcnt vmcnt(0)
	v_fmac_f64_e32 v[0:1], s[2:3], v[4:5]
.LBB0_9:
	global_store_dwordx2 v[2:3], v[0:1], off
.LBB0_10:
	s_endpgm
	.section	.rodata,"a",@progbits
	.p2align	6, 0x0
	.amdhsa_kernel _Z14ellpack_kerneliiPKiPKdS2_Pddd
		.amdhsa_group_segment_fixed_size 0
		.amdhsa_private_segment_fixed_size 0
		.amdhsa_kernarg_size 312
		.amdhsa_user_sgpr_count 6
		.amdhsa_user_sgpr_private_segment_buffer 1
		.amdhsa_user_sgpr_dispatch_ptr 0
		.amdhsa_user_sgpr_queue_ptr 0
		.amdhsa_user_sgpr_kernarg_segment_ptr 1
		.amdhsa_user_sgpr_dispatch_id 0
		.amdhsa_user_sgpr_flat_scratch_init 0
		.amdhsa_user_sgpr_kernarg_preload_length 0
		.amdhsa_user_sgpr_kernarg_preload_offset 0
		.amdhsa_user_sgpr_private_segment_size 0
		.amdhsa_uses_dynamic_stack 0
		.amdhsa_system_sgpr_private_segment_wavefront_offset 0
		.amdhsa_system_sgpr_workgroup_id_x 1
		.amdhsa_system_sgpr_workgroup_id_y 0
		.amdhsa_system_sgpr_workgroup_id_z 0
		.amdhsa_system_sgpr_workgroup_info 0
		.amdhsa_system_vgpr_workitem_id 0
		.amdhsa_next_free_vgpr 16
		.amdhsa_next_free_sgpr 17
		.amdhsa_accum_offset 16
		.amdhsa_reserve_vcc 1
		.amdhsa_reserve_flat_scratch 0
		.amdhsa_float_round_mode_32 0
		.amdhsa_float_round_mode_16_64 0
		.amdhsa_float_denorm_mode_32 3
		.amdhsa_float_denorm_mode_16_64 3
		.amdhsa_dx10_clamp 1
		.amdhsa_ieee_mode 1
		.amdhsa_fp16_overflow 0
		.amdhsa_tg_split 0
		.amdhsa_exception_fp_ieee_invalid_op 0
		.amdhsa_exception_fp_denorm_src 0
		.amdhsa_exception_fp_ieee_div_zero 0
		.amdhsa_exception_fp_ieee_overflow 0
		.amdhsa_exception_fp_ieee_underflow 0
		.amdhsa_exception_fp_ieee_inexact 0
		.amdhsa_exception_int_div_zero 0
	.end_amdhsa_kernel
	.text
.Lfunc_end0:
	.size	_Z14ellpack_kerneliiPKiPKdS2_Pddd, .Lfunc_end0-_Z14ellpack_kerneliiPKiPKdS2_Pddd
                                        ; -- End function
	.section	.AMDGPU.csdata,"",@progbits
; Kernel info:
; codeLenInByte = 396
; NumSgprs: 21
; NumVgprs: 16
; NumAgprs: 0
; TotalNumVgprs: 16
; ScratchSize: 0
; MemoryBound: 0
; FloatMode: 240
; IeeeMode: 1
; LDSByteSize: 0 bytes/workgroup (compile time only)
; SGPRBlocks: 2
; VGPRBlocks: 1
; NumSGPRsForWavesPerEU: 21
; NumVGPRsForWavesPerEU: 16
; AccumOffset: 16
; Occupancy: 8
; WaveLimiterHint : 1
; COMPUTE_PGM_RSRC2:SCRATCH_EN: 0
; COMPUTE_PGM_RSRC2:USER_SGPR: 6
; COMPUTE_PGM_RSRC2:TRAP_HANDLER: 0
; COMPUTE_PGM_RSRC2:TGID_X_EN: 1
; COMPUTE_PGM_RSRC2:TGID_Y_EN: 0
; COMPUTE_PGM_RSRC2:TGID_Z_EN: 0
; COMPUTE_PGM_RSRC2:TIDIG_COMP_CNT: 0
; COMPUTE_PGM_RSRC3_GFX90A:ACCUM_OFFSET: 3
; COMPUTE_PGM_RSRC3_GFX90A:TG_SPLIT: 0
	.section	.text._Z10fillColEllILi2EEviiPKiS1_PKdPiPd,"axG",@progbits,_Z10fillColEllILi2EEviiPKiS1_PKdPiPd,comdat
	.protected	_Z10fillColEllILi2EEviiPKiS1_PKdPiPd ; -- Begin function _Z10fillColEllILi2EEviiPKiS1_PKdPiPd
	.globl	_Z10fillColEllILi2EEviiPKiS1_PKdPiPd
	.p2align	8
	.type	_Z10fillColEllILi2EEviiPKiS1_PKdPiPd,@function
_Z10fillColEllILi2EEviiPKiS1_PKdPiPd:   ; @_Z10fillColEllILi2EEviiPKiS1_PKdPiPd
; %bb.0:
	s_load_dword s0, s[4:5], 0x3c
	s_load_dwordx2 s[2:3], s[4:5], 0x0
	v_lshrrev_b32_e32 v1, 1, v0
	s_waitcnt lgkmcnt(0)
	s_bfe_u32 s0, s0, 0xf0001
	s_mul_i32 s6, s6, s0
	v_add_u32_e32 v2, s6, v1
	v_cmp_gt_i32_e32 vcc, s2, v2
	s_and_saveexec_b64 s[0:1], vcc
	s_cbranch_execz .LBB1_8
; %bb.1:
	s_load_dwordx2 s[0:1], s[4:5], 0x8
	s_load_dwordx4 s[8:11], s[4:5], 0x20
	v_and_b32_e32 v3, 1, v0
	v_add_u32_e32 v0, v2, v3
	v_ashrrev_i32_e32 v1, 31, v0
	v_lshlrev_b64 v[0:1], 2, v[0:1]
	s_waitcnt lgkmcnt(0)
	v_mov_b32_e32 v4, s1
	v_add_co_u32_e32 v0, vcc, s0, v0
	v_addc_co_u32_e32 v1, vcc, v4, v1, vcc
	global_load_dword v0, v[0:1], off
	v_mbcnt_lo_u32_b32 v1, -1, 0
	v_mbcnt_hi_u32_b32 v1, -1, v1
	v_lshlrev_b32_e32 v1, 2, v1
	v_cmp_eq_u32_e32 vcc, 1, v3
	v_and_b32_e32 v8, 0x1f8, v1
	v_or_b32_e32 v9, 4, v1
	v_mov_b32_e32 v13, -1
	s_waitcnt vmcnt(0)
	v_cndmask_b32_e32 v1, v0, v0, vcc
	v_cmp_eq_u32_e32 vcc, 0, v3
	v_cndmask_b32_e32 v0, v0, v0, vcc
	ds_bpermute_b32 v10, v8, v0
	ds_bpermute_b32 v11, v9, v1
	s_waitcnt lgkmcnt(1)
	v_add_u32_e32 v12, v10, v3
	s_waitcnt lgkmcnt(0)
	v_cmp_lt_i32_e32 vcc, v12, v11
	s_and_saveexec_b64 s[6:7], vcc
	s_cbranch_execz .LBB1_5
; %bb.2:
	s_load_dwordx4 s[16:19], s[4:5], 0x10
	v_mad_u64_u32 v[0:1], s[0:1], s2, v3, v[2:3]
	v_ashrrev_i32_e32 v1, 31, v10
	v_add_co_u32_e32 v6, vcc, v10, v3
	v_addc_co_u32_e32 v7, vcc, 0, v1, vcc
	v_lshlrev_b64 v[4:5], 2, v[6:7]
	s_waitcnt lgkmcnt(0)
	v_mov_b32_e32 v1, s17
	v_add_co_u32_e32 v4, vcc, s16, v4
	v_addc_co_u32_e32 v5, vcc, v1, v5, vcc
	v_lshlrev_b64 v[6:7], 3, v[6:7]
	v_mov_b32_e32 v1, s19
	v_add_co_u32_e32 v6, vcc, s18, v6
	s_lshl_b32 s12, s2, 1
	v_addc_co_u32_e32 v7, vcc, v1, v7, vcc
	s_mov_b64 s[4:5], 0
	v_mov_b32_e32 v13, -1
	v_mov_b32_e32 v14, s9
	v_mov_b32_e32 v15, s11
.LBB1_3:                                ; =>This Inner Loop Header: Depth=1
	global_load_dword v22, v[4:5], off
	global_load_dwordx2 v[16:17], v[6:7], off
	v_add_co_u32_e32 v4, vcc, 8, v4
	v_ashrrev_i32_e32 v1, 31, v0
	v_addc_co_u32_e32 v5, vcc, 0, v5, vcc
	v_add_co_u32_e32 v6, vcc, 16, v6
	v_lshlrev_b64 v[18:19], 2, v[0:1]
	v_add_u32_e32 v12, 2, v12
	v_addc_co_u32_e32 v7, vcc, 0, v7, vcc
	v_add_co_u32_e64 v18, s[0:1], s8, v18
	v_lshlrev_b64 v[20:21], 3, v[0:1]
	v_cmp_ge_i32_e32 vcc, v12, v11
	v_addc_co_u32_e64 v19, s[0:1], v14, v19, s[0:1]
	v_add_u32_e32 v0, s12, v0
	v_add_co_u32_e64 v20, s[0:1], s10, v20
	s_or_b64 s[4:5], vcc, s[4:5]
	v_addc_co_u32_e64 v21, s[0:1], v15, v21, s[0:1]
	s_waitcnt vmcnt(1)
	global_store_dword v[18:19], v22, off
	s_waitcnt vmcnt(1)
	global_store_dwordx2 v[20:21], v[16:17], off
	v_max_i32_e32 v13, v22, v13
	s_andn2_b64 exec, exec, s[4:5]
	s_cbranch_execnz .LBB1_3
; %bb.4:
	s_or_b64 exec, exec, s[4:5]
.LBB1_5:
	s_or_b64 exec, exec, s[6:7]
	ds_bpermute_b32 v0, v9, v13
	s_waitcnt lgkmcnt(0)
	v_max_i32_e32 v0, v13, v0
	ds_bpermute_b32 v4, v8, v0
	v_sub_u32_e32 v0, v3, v10
	v_add_u32_e32 v5, v0, v11
	v_cmp_gt_i32_e32 vcc, s3, v5
	s_and_b64 exec, exec, vcc
	s_cbranch_execz .LBB1_8
; %bb.6:
	v_mad_u64_u32 v[0:1], s[0:1], s2, v5, v[2:3]
	v_mov_b32_e32 v2, 0
	s_lshl_b32 s2, s2, 1
	s_mov_b64 s[0:1], 0
	v_mov_b32_e32 v6, s9
	v_mov_b32_e32 v7, s11
	;; [unrolled: 1-line block ×3, first 2 shown]
.LBB1_7:                                ; =>This Inner Loop Header: Depth=1
	v_ashrrev_i32_e32 v1, 31, v0
	v_lshlrev_b64 v[8:9], 2, v[0:1]
	v_add_co_u32_e32 v8, vcc, s8, v8
	v_addc_co_u32_e32 v9, vcc, v6, v9, vcc
	s_waitcnt lgkmcnt(0)
	global_store_dword v[8:9], v4, off
	v_lshlrev_b64 v[8:9], 3, v[0:1]
	v_add_co_u32_e32 v8, vcc, s10, v8
	v_addc_co_u32_e32 v9, vcc, v7, v9, vcc
	v_add_u32_e32 v5, 2, v5
	v_cmp_le_i32_e32 vcc, s3, v5
	s_or_b64 s[0:1], vcc, s[0:1]
	v_add_u32_e32 v0, s2, v0
	global_store_dwordx2 v[8:9], v[2:3], off
	s_andn2_b64 exec, exec, s[0:1]
	s_cbranch_execnz .LBB1_7
.LBB1_8:
	s_endpgm
	.section	.rodata,"a",@progbits
	.p2align	6, 0x0
	.amdhsa_kernel _Z10fillColEllILi2EEviiPKiS1_PKdPiPd
		.amdhsa_group_segment_fixed_size 0
		.amdhsa_private_segment_fixed_size 0
		.amdhsa_kernarg_size 304
		.amdhsa_user_sgpr_count 6
		.amdhsa_user_sgpr_private_segment_buffer 1
		.amdhsa_user_sgpr_dispatch_ptr 0
		.amdhsa_user_sgpr_queue_ptr 0
		.amdhsa_user_sgpr_kernarg_segment_ptr 1
		.amdhsa_user_sgpr_dispatch_id 0
		.amdhsa_user_sgpr_flat_scratch_init 0
		.amdhsa_user_sgpr_kernarg_preload_length 0
		.amdhsa_user_sgpr_kernarg_preload_offset 0
		.amdhsa_user_sgpr_private_segment_size 0
		.amdhsa_uses_dynamic_stack 0
		.amdhsa_system_sgpr_private_segment_wavefront_offset 0
		.amdhsa_system_sgpr_workgroup_id_x 1
		.amdhsa_system_sgpr_workgroup_id_y 0
		.amdhsa_system_sgpr_workgroup_id_z 0
		.amdhsa_system_sgpr_workgroup_info 0
		.amdhsa_system_vgpr_workitem_id 0
		.amdhsa_next_free_vgpr 23
		.amdhsa_next_free_sgpr 20
		.amdhsa_accum_offset 24
		.amdhsa_reserve_vcc 1
		.amdhsa_reserve_flat_scratch 0
		.amdhsa_float_round_mode_32 0
		.amdhsa_float_round_mode_16_64 0
		.amdhsa_float_denorm_mode_32 3
		.amdhsa_float_denorm_mode_16_64 3
		.amdhsa_dx10_clamp 1
		.amdhsa_ieee_mode 1
		.amdhsa_fp16_overflow 0
		.amdhsa_tg_split 0
		.amdhsa_exception_fp_ieee_invalid_op 0
		.amdhsa_exception_fp_denorm_src 0
		.amdhsa_exception_fp_ieee_div_zero 0
		.amdhsa_exception_fp_ieee_overflow 0
		.amdhsa_exception_fp_ieee_underflow 0
		.amdhsa_exception_fp_ieee_inexact 0
		.amdhsa_exception_int_div_zero 0
	.end_amdhsa_kernel
	.section	.text._Z10fillColEllILi2EEviiPKiS1_PKdPiPd,"axG",@progbits,_Z10fillColEllILi2EEviiPKiS1_PKdPiPd,comdat
.Lfunc_end1:
	.size	_Z10fillColEllILi2EEviiPKiS1_PKdPiPd, .Lfunc_end1-_Z10fillColEllILi2EEviiPKiS1_PKdPiPd
                                        ; -- End function
	.section	.AMDGPU.csdata,"",@progbits
; Kernel info:
; codeLenInByte = 604
; NumSgprs: 24
; NumVgprs: 23
; NumAgprs: 0
; TotalNumVgprs: 23
; ScratchSize: 0
; MemoryBound: 0
; FloatMode: 240
; IeeeMode: 1
; LDSByteSize: 0 bytes/workgroup (compile time only)
; SGPRBlocks: 2
; VGPRBlocks: 2
; NumSGPRsForWavesPerEU: 24
; NumVGPRsForWavesPerEU: 23
; AccumOffset: 24
; Occupancy: 8
; WaveLimiterHint : 0
; COMPUTE_PGM_RSRC2:SCRATCH_EN: 0
; COMPUTE_PGM_RSRC2:USER_SGPR: 6
; COMPUTE_PGM_RSRC2:TRAP_HANDLER: 0
; COMPUTE_PGM_RSRC2:TGID_X_EN: 1
; COMPUTE_PGM_RSRC2:TGID_Y_EN: 0
; COMPUTE_PGM_RSRC2:TGID_Z_EN: 0
; COMPUTE_PGM_RSRC2:TIDIG_COMP_CNT: 0
; COMPUTE_PGM_RSRC3_GFX90A:ACCUM_OFFSET: 5
; COMPUTE_PGM_RSRC3_GFX90A:TG_SPLIT: 0
	.section	.text._Z10fillColEllILi4EEviiPKiS1_PKdPiPd,"axG",@progbits,_Z10fillColEllILi4EEviiPKiS1_PKdPiPd,comdat
	.protected	_Z10fillColEllILi4EEviiPKiS1_PKdPiPd ; -- Begin function _Z10fillColEllILi4EEviiPKiS1_PKdPiPd
	.globl	_Z10fillColEllILi4EEviiPKiS1_PKdPiPd
	.p2align	8
	.type	_Z10fillColEllILi4EEviiPKiS1_PKdPiPd,@function
_Z10fillColEllILi4EEviiPKiS1_PKdPiPd:   ; @_Z10fillColEllILi4EEviiPKiS1_PKdPiPd
; %bb.0:
	s_load_dword s0, s[4:5], 0x3c
	s_load_dwordx2 s[2:3], s[4:5], 0x0
	v_lshrrev_b32_e32 v1, 2, v0
	s_waitcnt lgkmcnt(0)
	s_bfe_u32 s0, s0, 0xe0002
	s_mul_i32 s6, s6, s0
	v_add_u32_e32 v2, s6, v1
	v_cmp_gt_i32_e32 vcc, s2, v2
	s_and_saveexec_b64 s[0:1], vcc
	s_cbranch_execz .LBB2_10
; %bb.1:
	v_and_b32_e32 v3, 3, v0
	v_cmp_gt_u32_e32 vcc, 2, v3
                                        ; implicit-def: $vgpr0
	s_and_saveexec_b64 s[0:1], vcc
	s_cbranch_execz .LBB2_3
; %bb.2:
	s_load_dwordx2 s[6:7], s[4:5], 0x8
	v_add_u32_e32 v0, v2, v3
	v_ashrrev_i32_e32 v1, 31, v0
	v_lshlrev_b64 v[0:1], 2, v[0:1]
	s_waitcnt lgkmcnt(0)
	v_mov_b32_e32 v4, s7
	v_add_co_u32_e32 v0, vcc, s6, v0
	v_addc_co_u32_e32 v1, vcc, v4, v1, vcc
	global_load_dword v0, v[0:1], off
.LBB2_3:
	s_or_b64 exec, exec, s[0:1]
	v_mbcnt_lo_u32_b32 v1, -1, 0
	v_mbcnt_hi_u32_b32 v11, -1, v1
	v_lshlrev_b32_e32 v1, 2, v11
	v_and_b32_e32 v8, 0x1f0, v1
	s_waitcnt vmcnt(0)
	ds_bpermute_b32 v9, v8, v0
	ds_bpermute_b32 v10, v8, v0 offset:4
	s_load_dwordx4 s[8:11], s[4:5], 0x20
	v_mov_b32_e32 v13, -1
	s_waitcnt lgkmcnt(0)
	v_add_u32_e32 v12, v9, v3
	v_cmp_lt_i32_e32 vcc, v12, v10
	s_and_saveexec_b64 s[6:7], vcc
	s_cbranch_execz .LBB2_7
; %bb.4:
	s_load_dwordx4 s[16:19], s[4:5], 0x10
	v_mad_u64_u32 v[0:1], s[0:1], s2, v3, v[2:3]
	v_ashrrev_i32_e32 v1, 31, v9
	v_add_co_u32_e32 v6, vcc, v9, v3
	v_addc_co_u32_e32 v7, vcc, 0, v1, vcc
	v_lshlrev_b64 v[4:5], 2, v[6:7]
	s_waitcnt lgkmcnt(0)
	v_mov_b32_e32 v1, s17
	v_add_co_u32_e32 v4, vcc, s16, v4
	v_addc_co_u32_e32 v5, vcc, v1, v5, vcc
	v_lshlrev_b64 v[6:7], 3, v[6:7]
	v_mov_b32_e32 v1, s19
	v_add_co_u32_e32 v6, vcc, s18, v6
	s_lshl_b32 s12, s2, 2
	v_addc_co_u32_e32 v7, vcc, v1, v7, vcc
	s_mov_b64 s[4:5], 0
	v_mov_b32_e32 v13, -1
	v_mov_b32_e32 v14, s9
	v_mov_b32_e32 v15, s11
.LBB2_5:                                ; =>This Inner Loop Header: Depth=1
	global_load_dword v22, v[4:5], off
	global_load_dwordx2 v[16:17], v[6:7], off
	v_add_co_u32_e32 v4, vcc, 16, v4
	v_ashrrev_i32_e32 v1, 31, v0
	v_addc_co_u32_e32 v5, vcc, 0, v5, vcc
	v_add_co_u32_e32 v6, vcc, 32, v6
	v_lshlrev_b64 v[18:19], 2, v[0:1]
	v_add_u32_e32 v12, 4, v12
	v_addc_co_u32_e32 v7, vcc, 0, v7, vcc
	v_add_co_u32_e64 v18, s[0:1], s8, v18
	v_lshlrev_b64 v[20:21], 3, v[0:1]
	v_cmp_ge_i32_e32 vcc, v12, v10
	v_addc_co_u32_e64 v19, s[0:1], v14, v19, s[0:1]
	v_add_u32_e32 v0, s12, v0
	v_add_co_u32_e64 v20, s[0:1], s10, v20
	s_or_b64 s[4:5], vcc, s[4:5]
	v_addc_co_u32_e64 v21, s[0:1], v15, v21, s[0:1]
	s_waitcnt vmcnt(1)
	global_store_dword v[18:19], v22, off
	s_waitcnt vmcnt(1)
	global_store_dwordx2 v[20:21], v[16:17], off
	v_max_i32_e32 v13, v22, v13
	s_andn2_b64 exec, exec, s[4:5]
	s_cbranch_execnz .LBB2_5
; %bb.6:
	s_or_b64 exec, exec, s[4:5]
.LBB2_7:
	s_or_b64 exec, exec, s[6:7]
	v_and_b32_e32 v0, 3, v11
	v_cmp_gt_u32_e32 vcc, 2, v0
	v_cndmask_b32_e64 v1, 0, 1, vcc
	v_lshlrev_b32_e32 v1, 1, v1
	v_add_lshl_u32 v1, v1, v11, 2
	ds_bpermute_b32 v1, v1, v13
	v_cmp_ne_u32_e32 vcc, 3, v0
	v_addc_co_u32_e32 v0, vcc, 0, v11, vcc
	v_lshlrev_b32_e32 v0, 2, v0
	s_waitcnt lgkmcnt(0)
	v_max_i32_e32 v1, v13, v1
	ds_bpermute_b32 v0, v0, v1
	s_waitcnt lgkmcnt(0)
	v_max_i32_e32 v0, v1, v0
	ds_bpermute_b32 v4, v8, v0
	v_sub_u32_e32 v0, v3, v9
	v_add_u32_e32 v5, v0, v10
	v_cmp_gt_i32_e32 vcc, s3, v5
	s_and_b64 exec, exec, vcc
	s_cbranch_execz .LBB2_10
; %bb.8:
	v_mad_u64_u32 v[0:1], s[0:1], s2, v5, v[2:3]
	v_mov_b32_e32 v2, 0
	s_lshl_b32 s2, s2, 2
	s_mov_b64 s[0:1], 0
	v_mov_b32_e32 v6, s9
	v_mov_b32_e32 v7, s11
	;; [unrolled: 1-line block ×3, first 2 shown]
.LBB2_9:                                ; =>This Inner Loop Header: Depth=1
	v_ashrrev_i32_e32 v1, 31, v0
	v_lshlrev_b64 v[8:9], 2, v[0:1]
	v_add_co_u32_e32 v8, vcc, s8, v8
	v_addc_co_u32_e32 v9, vcc, v6, v9, vcc
	s_waitcnt lgkmcnt(0)
	global_store_dword v[8:9], v4, off
	v_lshlrev_b64 v[8:9], 3, v[0:1]
	v_add_co_u32_e32 v8, vcc, s10, v8
	v_addc_co_u32_e32 v9, vcc, v7, v9, vcc
	v_add_u32_e32 v5, 4, v5
	v_cmp_le_i32_e32 vcc, s3, v5
	s_or_b64 s[0:1], vcc, s[0:1]
	v_add_u32_e32 v0, s2, v0
	global_store_dwordx2 v[8:9], v[2:3], off
	s_andn2_b64 exec, exec, s[0:1]
	s_cbranch_execnz .LBB2_9
.LBB2_10:
	s_endpgm
	.section	.rodata,"a",@progbits
	.p2align	6, 0x0
	.amdhsa_kernel _Z10fillColEllILi4EEviiPKiS1_PKdPiPd
		.amdhsa_group_segment_fixed_size 0
		.amdhsa_private_segment_fixed_size 0
		.amdhsa_kernarg_size 304
		.amdhsa_user_sgpr_count 6
		.amdhsa_user_sgpr_private_segment_buffer 1
		.amdhsa_user_sgpr_dispatch_ptr 0
		.amdhsa_user_sgpr_queue_ptr 0
		.amdhsa_user_sgpr_kernarg_segment_ptr 1
		.amdhsa_user_sgpr_dispatch_id 0
		.amdhsa_user_sgpr_flat_scratch_init 0
		.amdhsa_user_sgpr_kernarg_preload_length 0
		.amdhsa_user_sgpr_kernarg_preload_offset 0
		.amdhsa_user_sgpr_private_segment_size 0
		.amdhsa_uses_dynamic_stack 0
		.amdhsa_system_sgpr_private_segment_wavefront_offset 0
		.amdhsa_system_sgpr_workgroup_id_x 1
		.amdhsa_system_sgpr_workgroup_id_y 0
		.amdhsa_system_sgpr_workgroup_id_z 0
		.amdhsa_system_sgpr_workgroup_info 0
		.amdhsa_system_vgpr_workitem_id 0
		.amdhsa_next_free_vgpr 23
		.amdhsa_next_free_sgpr 20
		.amdhsa_accum_offset 24
		.amdhsa_reserve_vcc 1
		.amdhsa_reserve_flat_scratch 0
		.amdhsa_float_round_mode_32 0
		.amdhsa_float_round_mode_16_64 0
		.amdhsa_float_denorm_mode_32 3
		.amdhsa_float_denorm_mode_16_64 3
		.amdhsa_dx10_clamp 1
		.amdhsa_ieee_mode 1
		.amdhsa_fp16_overflow 0
		.amdhsa_tg_split 0
		.amdhsa_exception_fp_ieee_invalid_op 0
		.amdhsa_exception_fp_denorm_src 0
		.amdhsa_exception_fp_ieee_div_zero 0
		.amdhsa_exception_fp_ieee_overflow 0
		.amdhsa_exception_fp_ieee_underflow 0
		.amdhsa_exception_fp_ieee_inexact 0
		.amdhsa_exception_int_div_zero 0
	.end_amdhsa_kernel
	.section	.text._Z10fillColEllILi4EEviiPKiS1_PKdPiPd,"axG",@progbits,_Z10fillColEllILi4EEviiPKiS1_PKdPiPd,comdat
.Lfunc_end2:
	.size	_Z10fillColEllILi4EEviiPKiS1_PKdPiPd, .Lfunc_end2-_Z10fillColEllILi4EEviiPKiS1_PKdPiPd
                                        ; -- End function
	.section	.AMDGPU.csdata,"",@progbits
; Kernel info:
; codeLenInByte = 652
; NumSgprs: 24
; NumVgprs: 23
; NumAgprs: 0
; TotalNumVgprs: 23
; ScratchSize: 0
; MemoryBound: 0
; FloatMode: 240
; IeeeMode: 1
; LDSByteSize: 0 bytes/workgroup (compile time only)
; SGPRBlocks: 2
; VGPRBlocks: 2
; NumSGPRsForWavesPerEU: 24
; NumVGPRsForWavesPerEU: 23
; AccumOffset: 24
; Occupancy: 8
; WaveLimiterHint : 0
; COMPUTE_PGM_RSRC2:SCRATCH_EN: 0
; COMPUTE_PGM_RSRC2:USER_SGPR: 6
; COMPUTE_PGM_RSRC2:TRAP_HANDLER: 0
; COMPUTE_PGM_RSRC2:TGID_X_EN: 1
; COMPUTE_PGM_RSRC2:TGID_Y_EN: 0
; COMPUTE_PGM_RSRC2:TGID_Z_EN: 0
; COMPUTE_PGM_RSRC2:TIDIG_COMP_CNT: 0
; COMPUTE_PGM_RSRC3_GFX90A:ACCUM_OFFSET: 5
; COMPUTE_PGM_RSRC3_GFX90A:TG_SPLIT: 0
	.section	.text._Z10fillColEllILi8EEviiPKiS1_PKdPiPd,"axG",@progbits,_Z10fillColEllILi8EEviiPKiS1_PKdPiPd,comdat
	.protected	_Z10fillColEllILi8EEviiPKiS1_PKdPiPd ; -- Begin function _Z10fillColEllILi8EEviiPKiS1_PKdPiPd
	.globl	_Z10fillColEllILi8EEviiPKiS1_PKdPiPd
	.p2align	8
	.type	_Z10fillColEllILi8EEviiPKiS1_PKdPiPd,@function
_Z10fillColEllILi8EEviiPKiS1_PKdPiPd:   ; @_Z10fillColEllILi8EEviiPKiS1_PKdPiPd
; %bb.0:
	s_load_dword s0, s[4:5], 0x3c
	s_load_dwordx2 s[2:3], s[4:5], 0x0
	v_lshrrev_b32_e32 v1, 3, v0
	s_waitcnt lgkmcnt(0)
	s_bfe_u32 s0, s0, 0xd0003
	s_mul_i32 s6, s6, s0
	v_add_u32_e32 v2, s6, v1
	v_cmp_gt_i32_e32 vcc, s2, v2
	s_and_saveexec_b64 s[0:1], vcc
	s_cbranch_execz .LBB3_10
; %bb.1:
	v_and_b32_e32 v3, 7, v0
	v_cmp_gt_u32_e32 vcc, 2, v3
                                        ; implicit-def: $vgpr0
	s_and_saveexec_b64 s[0:1], vcc
	s_cbranch_execz .LBB3_3
; %bb.2:
	s_load_dwordx2 s[6:7], s[4:5], 0x8
	v_add_u32_e32 v0, v2, v3
	v_ashrrev_i32_e32 v1, 31, v0
	v_lshlrev_b64 v[0:1], 2, v[0:1]
	s_waitcnt lgkmcnt(0)
	v_mov_b32_e32 v4, s7
	v_add_co_u32_e32 v0, vcc, s6, v0
	v_addc_co_u32_e32 v1, vcc, v4, v1, vcc
	global_load_dword v0, v[0:1], off
.LBB3_3:
	s_or_b64 exec, exec, s[0:1]
	v_mbcnt_lo_u32_b32 v1, -1, 0
	v_mbcnt_hi_u32_b32 v11, -1, v1
	v_lshlrev_b32_e32 v1, 2, v11
	v_and_b32_e32 v8, 0x1e0, v1
	s_waitcnt vmcnt(0)
	ds_bpermute_b32 v9, v8, v0
	ds_bpermute_b32 v10, v8, v0 offset:4
	s_load_dwordx4 s[8:11], s[4:5], 0x20
	v_mov_b32_e32 v13, -1
	s_waitcnt lgkmcnt(0)
	v_add_u32_e32 v12, v9, v3
	v_cmp_lt_i32_e32 vcc, v12, v10
	s_and_saveexec_b64 s[6:7], vcc
	s_cbranch_execz .LBB3_7
; %bb.4:
	s_load_dwordx4 s[16:19], s[4:5], 0x10
	v_mad_u64_u32 v[0:1], s[0:1], s2, v3, v[2:3]
	v_ashrrev_i32_e32 v1, 31, v9
	v_add_co_u32_e32 v6, vcc, v9, v3
	v_addc_co_u32_e32 v7, vcc, 0, v1, vcc
	v_lshlrev_b64 v[4:5], 2, v[6:7]
	s_waitcnt lgkmcnt(0)
	v_mov_b32_e32 v1, s17
	v_add_co_u32_e32 v4, vcc, s16, v4
	v_addc_co_u32_e32 v5, vcc, v1, v5, vcc
	v_lshlrev_b64 v[6:7], 3, v[6:7]
	v_mov_b32_e32 v1, s19
	v_add_co_u32_e32 v6, vcc, s18, v6
	s_lshl_b32 s12, s2, 3
	v_addc_co_u32_e32 v7, vcc, v1, v7, vcc
	s_mov_b64 s[4:5], 0
	v_mov_b32_e32 v13, -1
	v_mov_b32_e32 v14, s9
	v_mov_b32_e32 v15, s11
.LBB3_5:                                ; =>This Inner Loop Header: Depth=1
	global_load_dword v22, v[4:5], off
	global_load_dwordx2 v[16:17], v[6:7], off
	v_add_co_u32_e32 v4, vcc, 32, v4
	v_ashrrev_i32_e32 v1, 31, v0
	v_addc_co_u32_e32 v5, vcc, 0, v5, vcc
	v_add_co_u32_e32 v6, vcc, 64, v6
	v_lshlrev_b64 v[18:19], 2, v[0:1]
	v_add_u32_e32 v12, 8, v12
	v_addc_co_u32_e32 v7, vcc, 0, v7, vcc
	v_add_co_u32_e64 v18, s[0:1], s8, v18
	v_lshlrev_b64 v[20:21], 3, v[0:1]
	v_cmp_ge_i32_e32 vcc, v12, v10
	v_addc_co_u32_e64 v19, s[0:1], v14, v19, s[0:1]
	v_add_u32_e32 v0, s12, v0
	v_add_co_u32_e64 v20, s[0:1], s10, v20
	s_or_b64 s[4:5], vcc, s[4:5]
	v_addc_co_u32_e64 v21, s[0:1], v15, v21, s[0:1]
	s_waitcnt vmcnt(1)
	global_store_dword v[18:19], v22, off
	s_waitcnt vmcnt(1)
	global_store_dwordx2 v[20:21], v[16:17], off
	v_max_i32_e32 v13, v22, v13
	s_andn2_b64 exec, exec, s[4:5]
	s_cbranch_execnz .LBB3_5
; %bb.6:
	s_or_b64 exec, exec, s[4:5]
.LBB3_7:
	s_or_b64 exec, exec, s[6:7]
	v_and_b32_e32 v0, 7, v11
	v_cmp_gt_u32_e32 vcc, 4, v0
	v_cndmask_b32_e64 v1, 0, 1, vcc
	v_lshlrev_b32_e32 v1, 2, v1
	v_add_lshl_u32 v1, v1, v11, 2
	ds_bpermute_b32 v1, v1, v13
	v_cmp_gt_u32_e32 vcc, 6, v0
	v_cndmask_b32_e64 v4, 0, 1, vcc
	v_lshlrev_b32_e32 v4, 1, v4
	v_add_lshl_u32 v4, v4, v11, 2
	s_waitcnt lgkmcnt(0)
	v_max_i32_e32 v1, v13, v1
	ds_bpermute_b32 v4, v4, v1
	v_cmp_ne_u32_e32 vcc, 7, v0
	v_addc_co_u32_e32 v0, vcc, 0, v11, vcc
	v_lshlrev_b32_e32 v0, 2, v0
	s_waitcnt lgkmcnt(0)
	v_max_i32_e32 v1, v1, v4
	ds_bpermute_b32 v0, v0, v1
	s_waitcnt lgkmcnt(0)
	v_max_i32_e32 v0, v1, v0
	ds_bpermute_b32 v4, v8, v0
	v_sub_u32_e32 v0, v3, v9
	v_add_u32_e32 v5, v0, v10
	v_cmp_gt_i32_e32 vcc, s3, v5
	s_and_b64 exec, exec, vcc
	s_cbranch_execz .LBB3_10
; %bb.8:
	v_mad_u64_u32 v[0:1], s[0:1], s2, v5, v[2:3]
	v_mov_b32_e32 v2, 0
	s_lshl_b32 s2, s2, 3
	s_mov_b64 s[0:1], 0
	v_mov_b32_e32 v6, s9
	v_mov_b32_e32 v7, s11
	;; [unrolled: 1-line block ×3, first 2 shown]
.LBB3_9:                                ; =>This Inner Loop Header: Depth=1
	v_ashrrev_i32_e32 v1, 31, v0
	v_lshlrev_b64 v[8:9], 2, v[0:1]
	v_add_co_u32_e32 v8, vcc, s8, v8
	v_addc_co_u32_e32 v9, vcc, v6, v9, vcc
	s_waitcnt lgkmcnt(0)
	global_store_dword v[8:9], v4, off
	v_lshlrev_b64 v[8:9], 3, v[0:1]
	v_add_co_u32_e32 v8, vcc, s10, v8
	v_addc_co_u32_e32 v9, vcc, v7, v9, vcc
	v_add_u32_e32 v5, 8, v5
	v_cmp_le_i32_e32 vcc, s3, v5
	s_or_b64 s[0:1], vcc, s[0:1]
	v_add_u32_e32 v0, s2, v0
	global_store_dwordx2 v[8:9], v[2:3], off
	s_andn2_b64 exec, exec, s[0:1]
	s_cbranch_execnz .LBB3_9
.LBB3_10:
	s_endpgm
	.section	.rodata,"a",@progbits
	.p2align	6, 0x0
	.amdhsa_kernel _Z10fillColEllILi8EEviiPKiS1_PKdPiPd
		.amdhsa_group_segment_fixed_size 0
		.amdhsa_private_segment_fixed_size 0
		.amdhsa_kernarg_size 304
		.amdhsa_user_sgpr_count 6
		.amdhsa_user_sgpr_private_segment_buffer 1
		.amdhsa_user_sgpr_dispatch_ptr 0
		.amdhsa_user_sgpr_queue_ptr 0
		.amdhsa_user_sgpr_kernarg_segment_ptr 1
		.amdhsa_user_sgpr_dispatch_id 0
		.amdhsa_user_sgpr_flat_scratch_init 0
		.amdhsa_user_sgpr_kernarg_preload_length 0
		.amdhsa_user_sgpr_kernarg_preload_offset 0
		.amdhsa_user_sgpr_private_segment_size 0
		.amdhsa_uses_dynamic_stack 0
		.amdhsa_system_sgpr_private_segment_wavefront_offset 0
		.amdhsa_system_sgpr_workgroup_id_x 1
		.amdhsa_system_sgpr_workgroup_id_y 0
		.amdhsa_system_sgpr_workgroup_id_z 0
		.amdhsa_system_sgpr_workgroup_info 0
		.amdhsa_system_vgpr_workitem_id 0
		.amdhsa_next_free_vgpr 23
		.amdhsa_next_free_sgpr 20
		.amdhsa_accum_offset 24
		.amdhsa_reserve_vcc 1
		.amdhsa_reserve_flat_scratch 0
		.amdhsa_float_round_mode_32 0
		.amdhsa_float_round_mode_16_64 0
		.amdhsa_float_denorm_mode_32 3
		.amdhsa_float_denorm_mode_16_64 3
		.amdhsa_dx10_clamp 1
		.amdhsa_ieee_mode 1
		.amdhsa_fp16_overflow 0
		.amdhsa_tg_split 0
		.amdhsa_exception_fp_ieee_invalid_op 0
		.amdhsa_exception_fp_denorm_src 0
		.amdhsa_exception_fp_ieee_div_zero 0
		.amdhsa_exception_fp_ieee_overflow 0
		.amdhsa_exception_fp_ieee_underflow 0
		.amdhsa_exception_fp_ieee_inexact 0
		.amdhsa_exception_int_div_zero 0
	.end_amdhsa_kernel
	.section	.text._Z10fillColEllILi8EEviiPKiS1_PKdPiPd,"axG",@progbits,_Z10fillColEllILi8EEviiPKiS1_PKdPiPd,comdat
.Lfunc_end3:
	.size	_Z10fillColEllILi8EEviiPKiS1_PKdPiPd, .Lfunc_end3-_Z10fillColEllILi8EEviiPKiS1_PKdPiPd
                                        ; -- End function
	.section	.AMDGPU.csdata,"",@progbits
; Kernel info:
; codeLenInByte = 692
; NumSgprs: 24
; NumVgprs: 23
; NumAgprs: 0
; TotalNumVgprs: 23
; ScratchSize: 0
; MemoryBound: 0
; FloatMode: 240
; IeeeMode: 1
; LDSByteSize: 0 bytes/workgroup (compile time only)
; SGPRBlocks: 2
; VGPRBlocks: 2
; NumSGPRsForWavesPerEU: 24
; NumVGPRsForWavesPerEU: 23
; AccumOffset: 24
; Occupancy: 8
; WaveLimiterHint : 0
; COMPUTE_PGM_RSRC2:SCRATCH_EN: 0
; COMPUTE_PGM_RSRC2:USER_SGPR: 6
; COMPUTE_PGM_RSRC2:TRAP_HANDLER: 0
; COMPUTE_PGM_RSRC2:TGID_X_EN: 1
; COMPUTE_PGM_RSRC2:TGID_Y_EN: 0
; COMPUTE_PGM_RSRC2:TGID_Z_EN: 0
; COMPUTE_PGM_RSRC2:TIDIG_COMP_CNT: 0
; COMPUTE_PGM_RSRC3_GFX90A:ACCUM_OFFSET: 5
; COMPUTE_PGM_RSRC3_GFX90A:TG_SPLIT: 0
	.section	.text._Z10fillColEllILi16EEviiPKiS1_PKdPiPd,"axG",@progbits,_Z10fillColEllILi16EEviiPKiS1_PKdPiPd,comdat
	.protected	_Z10fillColEllILi16EEviiPKiS1_PKdPiPd ; -- Begin function _Z10fillColEllILi16EEviiPKiS1_PKdPiPd
	.globl	_Z10fillColEllILi16EEviiPKiS1_PKdPiPd
	.p2align	8
	.type	_Z10fillColEllILi16EEviiPKiS1_PKdPiPd,@function
_Z10fillColEllILi16EEviiPKiS1_PKdPiPd:  ; @_Z10fillColEllILi16EEviiPKiS1_PKdPiPd
; %bb.0:
	s_load_dword s0, s[4:5], 0x3c
	s_load_dwordx2 s[2:3], s[4:5], 0x0
	v_lshrrev_b32_e32 v1, 4, v0
	s_waitcnt lgkmcnt(0)
	s_bfe_u32 s0, s0, 0xc0004
	s_mul_i32 s6, s6, s0
	v_add_u32_e32 v2, s6, v1
	v_cmp_gt_i32_e32 vcc, s2, v2
	s_and_saveexec_b64 s[0:1], vcc
	s_cbranch_execz .LBB4_10
; %bb.1:
	v_and_b32_e32 v3, 15, v0
	v_cmp_gt_u32_e32 vcc, 2, v3
                                        ; implicit-def: $vgpr0
	s_and_saveexec_b64 s[0:1], vcc
	s_cbranch_execz .LBB4_3
; %bb.2:
	s_load_dwordx2 s[6:7], s[4:5], 0x8
	v_add_u32_e32 v0, v2, v3
	v_ashrrev_i32_e32 v1, 31, v0
	v_lshlrev_b64 v[0:1], 2, v[0:1]
	s_waitcnt lgkmcnt(0)
	v_mov_b32_e32 v4, s7
	v_add_co_u32_e32 v0, vcc, s6, v0
	v_addc_co_u32_e32 v1, vcc, v4, v1, vcc
	global_load_dword v0, v[0:1], off
.LBB4_3:
	s_or_b64 exec, exec, s[0:1]
	v_mbcnt_lo_u32_b32 v1, -1, 0
	v_mbcnt_hi_u32_b32 v11, -1, v1
	v_lshlrev_b32_e32 v1, 2, v11
	v_and_b32_e32 v8, 0x1c0, v1
	s_waitcnt vmcnt(0)
	ds_bpermute_b32 v9, v8, v0
	ds_bpermute_b32 v10, v8, v0 offset:4
	s_load_dwordx4 s[8:11], s[4:5], 0x20
	v_mov_b32_e32 v13, -1
	s_waitcnt lgkmcnt(0)
	v_add_u32_e32 v12, v9, v3
	v_cmp_lt_i32_e32 vcc, v12, v10
	s_and_saveexec_b64 s[6:7], vcc
	s_cbranch_execz .LBB4_7
; %bb.4:
	s_load_dwordx4 s[16:19], s[4:5], 0x10
	v_mad_u64_u32 v[0:1], s[0:1], s2, v3, v[2:3]
	v_ashrrev_i32_e32 v1, 31, v9
	v_add_co_u32_e32 v6, vcc, v9, v3
	v_addc_co_u32_e32 v7, vcc, 0, v1, vcc
	v_lshlrev_b64 v[4:5], 2, v[6:7]
	s_waitcnt lgkmcnt(0)
	v_mov_b32_e32 v1, s17
	v_add_co_u32_e32 v4, vcc, s16, v4
	v_addc_co_u32_e32 v5, vcc, v1, v5, vcc
	v_lshlrev_b64 v[6:7], 3, v[6:7]
	v_mov_b32_e32 v1, s19
	v_add_co_u32_e32 v6, vcc, s18, v6
	s_lshl_b32 s12, s2, 4
	v_addc_co_u32_e32 v7, vcc, v1, v7, vcc
	s_mov_b64 s[4:5], 0
	v_mov_b32_e32 v13, -1
	v_mov_b32_e32 v14, s9
	v_mov_b32_e32 v15, s11
.LBB4_5:                                ; =>This Inner Loop Header: Depth=1
	global_load_dword v22, v[4:5], off
	global_load_dwordx2 v[16:17], v[6:7], off
	v_add_co_u32_e32 v4, vcc, 64, v4
	v_ashrrev_i32_e32 v1, 31, v0
	v_addc_co_u32_e32 v5, vcc, 0, v5, vcc
	v_add_co_u32_e32 v6, vcc, 0x80, v6
	v_lshlrev_b64 v[18:19], 2, v[0:1]
	v_add_u32_e32 v12, 16, v12
	v_addc_co_u32_e32 v7, vcc, 0, v7, vcc
	v_add_co_u32_e64 v18, s[0:1], s8, v18
	v_lshlrev_b64 v[20:21], 3, v[0:1]
	v_cmp_ge_i32_e32 vcc, v12, v10
	v_addc_co_u32_e64 v19, s[0:1], v14, v19, s[0:1]
	v_add_u32_e32 v0, s12, v0
	v_add_co_u32_e64 v20, s[0:1], s10, v20
	s_or_b64 s[4:5], vcc, s[4:5]
	v_addc_co_u32_e64 v21, s[0:1], v15, v21, s[0:1]
	s_waitcnt vmcnt(1)
	global_store_dword v[18:19], v22, off
	s_waitcnt vmcnt(1)
	global_store_dwordx2 v[20:21], v[16:17], off
	v_max_i32_e32 v13, v22, v13
	s_andn2_b64 exec, exec, s[4:5]
	s_cbranch_execnz .LBB4_5
; %bb.6:
	s_or_b64 exec, exec, s[4:5]
.LBB4_7:
	s_or_b64 exec, exec, s[6:7]
	v_and_b32_e32 v0, 15, v11
	v_cmp_gt_u32_e32 vcc, 8, v0
	v_cndmask_b32_e64 v1, 0, 1, vcc
	v_lshlrev_b32_e32 v1, 3, v1
	v_add_lshl_u32 v1, v1, v11, 2
	ds_bpermute_b32 v1, v1, v13
	v_cmp_gt_u32_e32 vcc, 12, v0
	v_cndmask_b32_e64 v4, 0, 1, vcc
	v_lshlrev_b32_e32 v4, 2, v4
	v_add_lshl_u32 v4, v4, v11, 2
	s_waitcnt lgkmcnt(0)
	v_max_i32_e32 v1, v13, v1
	ds_bpermute_b32 v4, v4, v1
	v_cmp_gt_u32_e32 vcc, 14, v0
	v_cndmask_b32_e64 v5, 0, 1, vcc
	v_lshlrev_b32_e32 v5, 1, v5
	v_cmp_ne_u32_e32 vcc, 15, v0
	s_waitcnt lgkmcnt(0)
	v_max_i32_e32 v1, v1, v4
	v_add_lshl_u32 v4, v5, v11, 2
	ds_bpermute_b32 v4, v4, v1
	v_addc_co_u32_e32 v0, vcc, 0, v11, vcc
	v_lshlrev_b32_e32 v0, 2, v0
	s_waitcnt lgkmcnt(0)
	v_max_i32_e32 v1, v1, v4
	ds_bpermute_b32 v0, v0, v1
	s_waitcnt lgkmcnt(0)
	v_max_i32_e32 v0, v1, v0
	ds_bpermute_b32 v4, v8, v0
	v_sub_u32_e32 v0, v3, v9
	v_add_u32_e32 v5, v0, v10
	v_cmp_gt_i32_e32 vcc, s3, v5
	s_and_b64 exec, exec, vcc
	s_cbranch_execz .LBB4_10
; %bb.8:
	v_mad_u64_u32 v[0:1], s[0:1], s2, v5, v[2:3]
	v_mov_b32_e32 v2, 0
	s_lshl_b32 s2, s2, 4
	s_mov_b64 s[0:1], 0
	v_mov_b32_e32 v6, s9
	v_mov_b32_e32 v7, s11
	;; [unrolled: 1-line block ×3, first 2 shown]
.LBB4_9:                                ; =>This Inner Loop Header: Depth=1
	v_ashrrev_i32_e32 v1, 31, v0
	v_lshlrev_b64 v[8:9], 2, v[0:1]
	v_add_co_u32_e32 v8, vcc, s8, v8
	v_addc_co_u32_e32 v9, vcc, v6, v9, vcc
	s_waitcnt lgkmcnt(0)
	global_store_dword v[8:9], v4, off
	v_lshlrev_b64 v[8:9], 3, v[0:1]
	v_add_co_u32_e32 v8, vcc, s10, v8
	v_addc_co_u32_e32 v9, vcc, v7, v9, vcc
	v_add_u32_e32 v5, 16, v5
	v_cmp_le_i32_e32 vcc, s3, v5
	s_or_b64 s[0:1], vcc, s[0:1]
	v_add_u32_e32 v0, s2, v0
	global_store_dwordx2 v[8:9], v[2:3], off
	s_andn2_b64 exec, exec, s[0:1]
	s_cbranch_execnz .LBB4_9
.LBB4_10:
	s_endpgm
	.section	.rodata,"a",@progbits
	.p2align	6, 0x0
	.amdhsa_kernel _Z10fillColEllILi16EEviiPKiS1_PKdPiPd
		.amdhsa_group_segment_fixed_size 0
		.amdhsa_private_segment_fixed_size 0
		.amdhsa_kernarg_size 304
		.amdhsa_user_sgpr_count 6
		.amdhsa_user_sgpr_private_segment_buffer 1
		.amdhsa_user_sgpr_dispatch_ptr 0
		.amdhsa_user_sgpr_queue_ptr 0
		.amdhsa_user_sgpr_kernarg_segment_ptr 1
		.amdhsa_user_sgpr_dispatch_id 0
		.amdhsa_user_sgpr_flat_scratch_init 0
		.amdhsa_user_sgpr_kernarg_preload_length 0
		.amdhsa_user_sgpr_kernarg_preload_offset 0
		.amdhsa_user_sgpr_private_segment_size 0
		.amdhsa_uses_dynamic_stack 0
		.amdhsa_system_sgpr_private_segment_wavefront_offset 0
		.amdhsa_system_sgpr_workgroup_id_x 1
		.amdhsa_system_sgpr_workgroup_id_y 0
		.amdhsa_system_sgpr_workgroup_id_z 0
		.amdhsa_system_sgpr_workgroup_info 0
		.amdhsa_system_vgpr_workitem_id 0
		.amdhsa_next_free_vgpr 23
		.amdhsa_next_free_sgpr 20
		.amdhsa_accum_offset 24
		.amdhsa_reserve_vcc 1
		.amdhsa_reserve_flat_scratch 0
		.amdhsa_float_round_mode_32 0
		.amdhsa_float_round_mode_16_64 0
		.amdhsa_float_denorm_mode_32 3
		.amdhsa_float_denorm_mode_16_64 3
		.amdhsa_dx10_clamp 1
		.amdhsa_ieee_mode 1
		.amdhsa_fp16_overflow 0
		.amdhsa_tg_split 0
		.amdhsa_exception_fp_ieee_invalid_op 0
		.amdhsa_exception_fp_denorm_src 0
		.amdhsa_exception_fp_ieee_div_zero 0
		.amdhsa_exception_fp_ieee_overflow 0
		.amdhsa_exception_fp_ieee_underflow 0
		.amdhsa_exception_fp_ieee_inexact 0
		.amdhsa_exception_int_div_zero 0
	.end_amdhsa_kernel
	.section	.text._Z10fillColEllILi16EEviiPKiS1_PKdPiPd,"axG",@progbits,_Z10fillColEllILi16EEviiPKiS1_PKdPiPd,comdat
.Lfunc_end4:
	.size	_Z10fillColEllILi16EEviiPKiS1_PKdPiPd, .Lfunc_end4-_Z10fillColEllILi16EEviiPKiS1_PKdPiPd
                                        ; -- End function
	.section	.AMDGPU.csdata,"",@progbits
; Kernel info:
; codeLenInByte = 736
; NumSgprs: 24
; NumVgprs: 23
; NumAgprs: 0
; TotalNumVgprs: 23
; ScratchSize: 0
; MemoryBound: 0
; FloatMode: 240
; IeeeMode: 1
; LDSByteSize: 0 bytes/workgroup (compile time only)
; SGPRBlocks: 2
; VGPRBlocks: 2
; NumSGPRsForWavesPerEU: 24
; NumVGPRsForWavesPerEU: 23
; AccumOffset: 24
; Occupancy: 8
; WaveLimiterHint : 0
; COMPUTE_PGM_RSRC2:SCRATCH_EN: 0
; COMPUTE_PGM_RSRC2:USER_SGPR: 6
; COMPUTE_PGM_RSRC2:TRAP_HANDLER: 0
; COMPUTE_PGM_RSRC2:TGID_X_EN: 1
; COMPUTE_PGM_RSRC2:TGID_Y_EN: 0
; COMPUTE_PGM_RSRC2:TGID_Z_EN: 0
; COMPUTE_PGM_RSRC2:TIDIG_COMP_CNT: 0
; COMPUTE_PGM_RSRC3_GFX90A:ACCUM_OFFSET: 5
; COMPUTE_PGM_RSRC3_GFX90A:TG_SPLIT: 0
	.section	.text._Z10fillColEllILi32EEviiPKiS1_PKdPiPd,"axG",@progbits,_Z10fillColEllILi32EEviiPKiS1_PKdPiPd,comdat
	.protected	_Z10fillColEllILi32EEviiPKiS1_PKdPiPd ; -- Begin function _Z10fillColEllILi32EEviiPKiS1_PKdPiPd
	.globl	_Z10fillColEllILi32EEviiPKiS1_PKdPiPd
	.p2align	8
	.type	_Z10fillColEllILi32EEviiPKiS1_PKdPiPd,@function
_Z10fillColEllILi32EEviiPKiS1_PKdPiPd:  ; @_Z10fillColEllILi32EEviiPKiS1_PKdPiPd
; %bb.0:
	s_load_dword s0, s[4:5], 0x3c
	s_load_dwordx2 s[12:13], s[4:5], 0x0
	v_lshrrev_b32_e32 v1, 5, v0
	s_waitcnt lgkmcnt(0)
	s_bfe_u32 s0, s0, 0xb0005
	s_mul_i32 s6, s6, s0
	v_add_u32_e32 v2, s6, v1
	v_cmp_gt_i32_e32 vcc, s12, v2
	s_and_saveexec_b64 s[0:1], vcc
	s_cbranch_execz .LBB5_10
; %bb.1:
	v_and_b32_e32 v3, 31, v0
	v_cmp_gt_u32_e32 vcc, 2, v3
                                        ; implicit-def: $vgpr0
	s_and_saveexec_b64 s[0:1], vcc
	s_cbranch_execz .LBB5_3
; %bb.2:
	s_load_dwordx2 s[2:3], s[4:5], 0x8
	v_add_u32_e32 v0, v2, v3
	v_ashrrev_i32_e32 v1, 31, v0
	v_lshlrev_b64 v[0:1], 2, v[0:1]
	s_waitcnt lgkmcnt(0)
	v_mov_b32_e32 v4, s3
	v_add_co_u32_e32 v0, vcc, s2, v0
	v_addc_co_u32_e32 v1, vcc, v4, v1, vcc
	global_load_dword v0, v[0:1], off
.LBB5_3:
	s_or_b64 exec, exec, s[0:1]
	v_mbcnt_lo_u32_b32 v1, -1, 0
	v_mbcnt_hi_u32_b32 v11, -1, v1
	v_lshlrev_b32_e32 v1, 2, v11
	v_and_b32_e32 v8, 0x180, v1
	s_waitcnt vmcnt(0)
	ds_bpermute_b32 v9, v8, v0
	ds_bpermute_b32 v10, v8, v0 offset:4
	s_load_dwordx4 s[8:11], s[4:5], 0x20
	v_mov_b32_e32 v13, -1
	s_waitcnt lgkmcnt(0)
	v_add_u32_e32 v12, v9, v3
	v_cmp_lt_i32_e32 vcc, v12, v10
	s_and_saveexec_b64 s[6:7], vcc
	s_cbranch_execz .LBB5_7
; %bb.4:
	s_load_dwordx4 s[0:3], s[4:5], 0x10
	v_mad_u64_u32 v[0:1], s[4:5], s12, v3, v[2:3]
	v_ashrrev_i32_e32 v1, 31, v9
	v_add_co_u32_e32 v6, vcc, v9, v3
	v_addc_co_u32_e32 v7, vcc, 0, v1, vcc
	v_lshlrev_b64 v[4:5], 2, v[6:7]
	s_waitcnt lgkmcnt(0)
	v_mov_b32_e32 v1, s1
	v_add_co_u32_e32 v4, vcc, s0, v4
	v_addc_co_u32_e32 v5, vcc, v1, v5, vcc
	v_lshlrev_b64 v[6:7], 3, v[6:7]
	v_mov_b32_e32 v1, s3
	v_add_co_u32_e32 v6, vcc, s2, v6
	s_lshl_b32 s14, s12, 5
	v_addc_co_u32_e32 v7, vcc, v1, v7, vcc
	s_mov_b64 s[4:5], 0
	v_mov_b32_e32 v13, -1
	v_mov_b32_e32 v14, s9
	v_mov_b32_e32 v15, s11
.LBB5_5:                                ; =>This Inner Loop Header: Depth=1
	global_load_dword v22, v[4:5], off
	global_load_dwordx2 v[16:17], v[6:7], off
	v_ashrrev_i32_e32 v1, 31, v0
	v_add_co_u32_e32 v4, vcc, 0x80, v4
	v_lshlrev_b64 v[18:19], 2, v[0:1]
	v_add_u32_e32 v12, 32, v12
	v_addc_co_u32_e32 v5, vcc, 0, v5, vcc
	v_add_co_u32_e64 v18, s[2:3], s8, v18
	v_lshlrev_b64 v[20:21], 3, v[0:1]
	v_add_co_u32_e32 v6, vcc, 0x100, v6
	v_cmp_ge_i32_e64 s[0:1], v12, v10
	v_addc_co_u32_e64 v19, s[2:3], v14, v19, s[2:3]
	v_add_u32_e32 v0, s14, v0
	v_add_co_u32_e64 v20, s[2:3], s10, v20
	v_addc_co_u32_e32 v7, vcc, 0, v7, vcc
	s_or_b64 s[4:5], s[0:1], s[4:5]
	v_addc_co_u32_e64 v21, s[2:3], v15, v21, s[2:3]
	s_waitcnt vmcnt(1)
	global_store_dword v[18:19], v22, off
	s_waitcnt vmcnt(1)
	global_store_dwordx2 v[20:21], v[16:17], off
	v_max_i32_e32 v13, v22, v13
	s_andn2_b64 exec, exec, s[4:5]
	s_cbranch_execnz .LBB5_5
; %bb.6:
	s_or_b64 exec, exec, s[4:5]
.LBB5_7:
	s_or_b64 exec, exec, s[6:7]
	v_and_b32_e32 v0, 31, v11
	v_cmp_gt_u32_e32 vcc, 16, v0
	v_cndmask_b32_e64 v1, 0, 1, vcc
	v_lshlrev_b32_e32 v1, 4, v1
	v_add_lshl_u32 v1, v1, v11, 2
	ds_bpermute_b32 v1, v1, v13
	v_cmp_gt_u32_e32 vcc, 24, v0
	v_cndmask_b32_e64 v4, 0, 1, vcc
	v_lshlrev_b32_e32 v4, 3, v4
	v_add_lshl_u32 v4, v4, v11, 2
	s_waitcnt lgkmcnt(0)
	v_max_i32_e32 v1, v13, v1
	ds_bpermute_b32 v4, v4, v1
	v_cmp_gt_u32_e32 vcc, 28, v0
	v_cndmask_b32_e64 v5, 0, 1, vcc
	v_lshlrev_b32_e32 v5, 2, v5
	v_cmp_gt_u32_e32 vcc, 30, v0
	s_waitcnt lgkmcnt(0)
	v_max_i32_e32 v1, v1, v4
	v_add_lshl_u32 v4, v5, v11, 2
	ds_bpermute_b32 v4, v4, v1
	v_cndmask_b32_e64 v5, 0, 1, vcc
	v_lshlrev_b32_e32 v5, 1, v5
	v_cmp_ne_u32_e32 vcc, 31, v0
	v_addc_co_u32_e32 v0, vcc, 0, v11, vcc
	s_waitcnt lgkmcnt(0)
	v_max_i32_e32 v1, v1, v4
	v_add_lshl_u32 v4, v5, v11, 2
	ds_bpermute_b32 v4, v4, v1
	v_lshlrev_b32_e32 v0, 2, v0
	s_waitcnt lgkmcnt(0)
	v_max_i32_e32 v1, v1, v4
	ds_bpermute_b32 v0, v0, v1
	s_waitcnt lgkmcnt(0)
	v_max_i32_e32 v0, v1, v0
	ds_bpermute_b32 v4, v8, v0
	v_sub_u32_e32 v0, v3, v9
	v_add_u32_e32 v5, v0, v10
	v_cmp_gt_i32_e32 vcc, s13, v5
	s_and_b64 exec, exec, vcc
	s_cbranch_execz .LBB5_10
; %bb.8:
	v_mad_u64_u32 v[0:1], s[0:1], s12, v5, v[2:3]
	v_mov_b32_e32 v2, 0
	s_lshl_b32 s2, s12, 5
	s_mov_b64 s[0:1], 0
	v_mov_b32_e32 v6, s9
	v_mov_b32_e32 v7, s11
	v_mov_b32_e32 v3, v2
.LBB5_9:                                ; =>This Inner Loop Header: Depth=1
	v_ashrrev_i32_e32 v1, 31, v0
	v_lshlrev_b64 v[8:9], 2, v[0:1]
	v_add_co_u32_e32 v8, vcc, s8, v8
	v_addc_co_u32_e32 v9, vcc, v6, v9, vcc
	s_waitcnt lgkmcnt(0)
	global_store_dword v[8:9], v4, off
	v_lshlrev_b64 v[8:9], 3, v[0:1]
	v_add_co_u32_e32 v8, vcc, s10, v8
	v_addc_co_u32_e32 v9, vcc, v7, v9, vcc
	v_add_u32_e32 v5, 32, v5
	v_cmp_le_i32_e32 vcc, s13, v5
	s_or_b64 s[0:1], vcc, s[0:1]
	v_add_u32_e32 v0, s2, v0
	global_store_dwordx2 v[8:9], v[2:3], off
	s_andn2_b64 exec, exec, s[0:1]
	s_cbranch_execnz .LBB5_9
.LBB5_10:
	s_endpgm
	.section	.rodata,"a",@progbits
	.p2align	6, 0x0
	.amdhsa_kernel _Z10fillColEllILi32EEviiPKiS1_PKdPiPd
		.amdhsa_group_segment_fixed_size 0
		.amdhsa_private_segment_fixed_size 0
		.amdhsa_kernarg_size 304
		.amdhsa_user_sgpr_count 6
		.amdhsa_user_sgpr_private_segment_buffer 1
		.amdhsa_user_sgpr_dispatch_ptr 0
		.amdhsa_user_sgpr_queue_ptr 0
		.amdhsa_user_sgpr_kernarg_segment_ptr 1
		.amdhsa_user_sgpr_dispatch_id 0
		.amdhsa_user_sgpr_flat_scratch_init 0
		.amdhsa_user_sgpr_kernarg_preload_length 0
		.amdhsa_user_sgpr_kernarg_preload_offset 0
		.amdhsa_user_sgpr_private_segment_size 0
		.amdhsa_uses_dynamic_stack 0
		.amdhsa_system_sgpr_private_segment_wavefront_offset 0
		.amdhsa_system_sgpr_workgroup_id_x 1
		.amdhsa_system_sgpr_workgroup_id_y 0
		.amdhsa_system_sgpr_workgroup_id_z 0
		.amdhsa_system_sgpr_workgroup_info 0
		.amdhsa_system_vgpr_workitem_id 0
		.amdhsa_next_free_vgpr 23
		.amdhsa_next_free_sgpr 15
		.amdhsa_accum_offset 24
		.amdhsa_reserve_vcc 1
		.amdhsa_reserve_flat_scratch 0
		.amdhsa_float_round_mode_32 0
		.amdhsa_float_round_mode_16_64 0
		.amdhsa_float_denorm_mode_32 3
		.amdhsa_float_denorm_mode_16_64 3
		.amdhsa_dx10_clamp 1
		.amdhsa_ieee_mode 1
		.amdhsa_fp16_overflow 0
		.amdhsa_tg_split 0
		.amdhsa_exception_fp_ieee_invalid_op 0
		.amdhsa_exception_fp_denorm_src 0
		.amdhsa_exception_fp_ieee_div_zero 0
		.amdhsa_exception_fp_ieee_overflow 0
		.amdhsa_exception_fp_ieee_underflow 0
		.amdhsa_exception_fp_ieee_inexact 0
		.amdhsa_exception_int_div_zero 0
	.end_amdhsa_kernel
	.section	.text._Z10fillColEllILi32EEviiPKiS1_PKdPiPd,"axG",@progbits,_Z10fillColEllILi32EEviiPKiS1_PKdPiPd,comdat
.Lfunc_end5:
	.size	_Z10fillColEllILi32EEviiPKiS1_PKdPiPd, .Lfunc_end5-_Z10fillColEllILi32EEviiPKiS1_PKdPiPd
                                        ; -- End function
	.section	.AMDGPU.csdata,"",@progbits
; Kernel info:
; codeLenInByte = 784
; NumSgprs: 19
; NumVgprs: 23
; NumAgprs: 0
; TotalNumVgprs: 23
; ScratchSize: 0
; MemoryBound: 0
; FloatMode: 240
; IeeeMode: 1
; LDSByteSize: 0 bytes/workgroup (compile time only)
; SGPRBlocks: 2
; VGPRBlocks: 2
; NumSGPRsForWavesPerEU: 19
; NumVGPRsForWavesPerEU: 23
; AccumOffset: 24
; Occupancy: 8
; WaveLimiterHint : 0
; COMPUTE_PGM_RSRC2:SCRATCH_EN: 0
; COMPUTE_PGM_RSRC2:USER_SGPR: 6
; COMPUTE_PGM_RSRC2:TRAP_HANDLER: 0
; COMPUTE_PGM_RSRC2:TGID_X_EN: 1
; COMPUTE_PGM_RSRC2:TGID_Y_EN: 0
; COMPUTE_PGM_RSRC2:TGID_Z_EN: 0
; COMPUTE_PGM_RSRC2:TIDIG_COMP_CNT: 0
; COMPUTE_PGM_RSRC3_GFX90A:ACCUM_OFFSET: 5
; COMPUTE_PGM_RSRC3_GFX90A:TG_SPLIT: 0
	.section	.text._Z10fillColEllILi64EEviiPKiS1_PKdPiPd,"axG",@progbits,_Z10fillColEllILi64EEviiPKiS1_PKdPiPd,comdat
	.protected	_Z10fillColEllILi64EEviiPKiS1_PKdPiPd ; -- Begin function _Z10fillColEllILi64EEviiPKiS1_PKdPiPd
	.globl	_Z10fillColEllILi64EEviiPKiS1_PKdPiPd
	.p2align	8
	.type	_Z10fillColEllILi64EEviiPKiS1_PKdPiPd,@function
_Z10fillColEllILi64EEviiPKiS1_PKdPiPd:  ; @_Z10fillColEllILi64EEviiPKiS1_PKdPiPd
; %bb.0:
	s_load_dword s0, s[4:5], 0x3c
	s_load_dwordx2 s[12:13], s[4:5], 0x0
	v_lshrrev_b32_e32 v1, 6, v0
	s_waitcnt lgkmcnt(0)
	s_bfe_u32 s0, s0, 0xa0006
	s_mul_i32 s6, s6, s0
	v_add_u32_e32 v2, s6, v1
	v_cmp_gt_i32_e32 vcc, s12, v2
	s_and_saveexec_b64 s[0:1], vcc
	s_cbranch_execz .LBB6_10
; %bb.1:
	v_and_b32_e32 v3, 63, v0
	v_cmp_gt_u32_e32 vcc, 2, v3
                                        ; implicit-def: $vgpr0
	s_and_saveexec_b64 s[0:1], vcc
	s_cbranch_execz .LBB6_3
; %bb.2:
	s_load_dwordx2 s[2:3], s[4:5], 0x8
	v_add_u32_e32 v0, v2, v3
	v_ashrrev_i32_e32 v1, 31, v0
	v_lshlrev_b64 v[0:1], 2, v[0:1]
	s_waitcnt lgkmcnt(0)
	v_mov_b32_e32 v4, s3
	v_add_co_u32_e32 v0, vcc, s2, v0
	v_addc_co_u32_e32 v1, vcc, v4, v1, vcc
	global_load_dword v0, v[0:1], off
.LBB6_3:
	s_or_b64 exec, exec, s[0:1]
	v_mbcnt_lo_u32_b32 v1, -1, 0
	v_mbcnt_hi_u32_b32 v11, -1, v1
	v_lshlrev_b32_e32 v1, 2, v11
	v_and_b32_e32 v8, 0x100, v1
	s_waitcnt vmcnt(0)
	ds_bpermute_b32 v9, v8, v0
	ds_bpermute_b32 v10, v8, v0 offset:4
	s_load_dwordx4 s[8:11], s[4:5], 0x20
	v_mov_b32_e32 v13, -1
	s_waitcnt lgkmcnt(0)
	v_add_u32_e32 v12, v9, v3
	v_cmp_lt_i32_e32 vcc, v12, v10
	s_and_saveexec_b64 s[6:7], vcc
	s_cbranch_execz .LBB6_7
; %bb.4:
	s_load_dwordx4 s[0:3], s[4:5], 0x10
	v_mad_u64_u32 v[0:1], s[4:5], s12, v3, v[2:3]
	v_ashrrev_i32_e32 v1, 31, v9
	v_add_co_u32_e32 v6, vcc, v9, v3
	v_addc_co_u32_e32 v7, vcc, 0, v1, vcc
	v_lshlrev_b64 v[4:5], 2, v[6:7]
	s_waitcnt lgkmcnt(0)
	v_mov_b32_e32 v1, s1
	v_add_co_u32_e32 v4, vcc, s0, v4
	v_addc_co_u32_e32 v5, vcc, v1, v5, vcc
	v_lshlrev_b64 v[6:7], 3, v[6:7]
	v_mov_b32_e32 v1, s3
	v_add_co_u32_e32 v6, vcc, s2, v6
	s_lshl_b32 s14, s12, 6
	v_addc_co_u32_e32 v7, vcc, v1, v7, vcc
	s_mov_b64 s[4:5], 0
	v_mov_b32_e32 v13, -1
	v_mov_b32_e32 v14, s9
	v_mov_b32_e32 v15, s11
.LBB6_5:                                ; =>This Inner Loop Header: Depth=1
	global_load_dword v22, v[4:5], off
	global_load_dwordx2 v[16:17], v[6:7], off
	v_ashrrev_i32_e32 v1, 31, v0
	v_add_co_u32_e32 v4, vcc, 0x100, v4
	v_lshlrev_b64 v[18:19], 2, v[0:1]
	v_add_u32_e32 v12, 64, v12
	v_addc_co_u32_e32 v5, vcc, 0, v5, vcc
	v_add_co_u32_e64 v18, s[2:3], s8, v18
	v_lshlrev_b64 v[20:21], 3, v[0:1]
	v_add_co_u32_e32 v6, vcc, 0x200, v6
	v_cmp_ge_i32_e64 s[0:1], v12, v10
	v_addc_co_u32_e64 v19, s[2:3], v14, v19, s[2:3]
	v_add_u32_e32 v0, s14, v0
	v_add_co_u32_e64 v20, s[2:3], s10, v20
	v_addc_co_u32_e32 v7, vcc, 0, v7, vcc
	s_or_b64 s[4:5], s[0:1], s[4:5]
	v_addc_co_u32_e64 v21, s[2:3], v15, v21, s[2:3]
	s_waitcnt vmcnt(1)
	global_store_dword v[18:19], v22, off
	s_waitcnt vmcnt(1)
	global_store_dwordx2 v[20:21], v[16:17], off
	v_max_i32_e32 v13, v22, v13
	s_andn2_b64 exec, exec, s[4:5]
	s_cbranch_execnz .LBB6_5
; %bb.6:
	s_or_b64 exec, exec, s[4:5]
.LBB6_7:
	s_or_b64 exec, exec, s[6:7]
	v_and_b32_e32 v0, 63, v11
	v_cmp_gt_u32_e32 vcc, 32, v0
	v_cndmask_b32_e64 v1, 0, 1, vcc
	v_lshlrev_b32_e32 v1, 5, v1
	v_add_lshl_u32 v1, v1, v11, 2
	ds_bpermute_b32 v1, v1, v13
	v_cmp_gt_u32_e32 vcc, 48, v0
	v_cndmask_b32_e64 v4, 0, 1, vcc
	v_lshlrev_b32_e32 v4, 4, v4
	v_add_lshl_u32 v4, v4, v11, 2
	s_waitcnt lgkmcnt(0)
	v_max_i32_e32 v1, v13, v1
	ds_bpermute_b32 v4, v4, v1
	v_cmp_gt_u32_e32 vcc, 56, v0
	v_cndmask_b32_e64 v5, 0, 1, vcc
	v_lshlrev_b32_e32 v5, 3, v5
	v_cmp_gt_u32_e32 vcc, 60, v0
	s_waitcnt lgkmcnt(0)
	v_max_i32_e32 v1, v1, v4
	v_add_lshl_u32 v4, v5, v11, 2
	ds_bpermute_b32 v4, v4, v1
	v_cndmask_b32_e64 v5, 0, 1, vcc
	v_lshlrev_b32_e32 v5, 2, v5
	v_cmp_gt_u32_e32 vcc, 62, v0
	s_waitcnt lgkmcnt(0)
	v_max_i32_e32 v1, v1, v4
	v_add_lshl_u32 v4, v5, v11, 2
	ds_bpermute_b32 v4, v4, v1
	v_cndmask_b32_e64 v5, 0, 1, vcc
	v_lshlrev_b32_e32 v5, 1, v5
	v_cmp_ne_u32_e32 vcc, 63, v0
	v_addc_co_u32_e32 v0, vcc, 0, v11, vcc
	s_waitcnt lgkmcnt(0)
	v_max_i32_e32 v1, v1, v4
	v_add_lshl_u32 v4, v5, v11, 2
	ds_bpermute_b32 v4, v4, v1
	v_lshlrev_b32_e32 v0, 2, v0
	s_waitcnt lgkmcnt(0)
	v_max_i32_e32 v1, v1, v4
	ds_bpermute_b32 v0, v0, v1
	s_waitcnt lgkmcnt(0)
	v_max_i32_e32 v0, v1, v0
	ds_bpermute_b32 v4, v8, v0
	v_sub_u32_e32 v0, v3, v9
	v_add_u32_e32 v5, v0, v10
	v_cmp_gt_i32_e32 vcc, s13, v5
	s_and_b64 exec, exec, vcc
	s_cbranch_execz .LBB6_10
; %bb.8:
	v_mad_u64_u32 v[0:1], s[0:1], s12, v5, v[2:3]
	v_mov_b32_e32 v2, 0
	s_lshl_b32 s2, s12, 6
	s_mov_b64 s[0:1], 0
	v_mov_b32_e32 v6, s9
	v_mov_b32_e32 v7, s11
	;; [unrolled: 1-line block ×3, first 2 shown]
.LBB6_9:                                ; =>This Inner Loop Header: Depth=1
	v_ashrrev_i32_e32 v1, 31, v0
	v_lshlrev_b64 v[8:9], 2, v[0:1]
	v_add_co_u32_e32 v8, vcc, s8, v8
	v_addc_co_u32_e32 v9, vcc, v6, v9, vcc
	s_waitcnt lgkmcnt(0)
	global_store_dword v[8:9], v4, off
	v_lshlrev_b64 v[8:9], 3, v[0:1]
	v_add_co_u32_e32 v8, vcc, s10, v8
	v_addc_co_u32_e32 v9, vcc, v7, v9, vcc
	v_add_u32_e32 v5, 64, v5
	v_cmp_le_i32_e32 vcc, s13, v5
	s_or_b64 s[0:1], vcc, s[0:1]
	v_add_u32_e32 v0, s2, v0
	global_store_dwordx2 v[8:9], v[2:3], off
	s_andn2_b64 exec, exec, s[0:1]
	s_cbranch_execnz .LBB6_9
.LBB6_10:
	s_endpgm
	.section	.rodata,"a",@progbits
	.p2align	6, 0x0
	.amdhsa_kernel _Z10fillColEllILi64EEviiPKiS1_PKdPiPd
		.amdhsa_group_segment_fixed_size 0
		.amdhsa_private_segment_fixed_size 0
		.amdhsa_kernarg_size 304
		.amdhsa_user_sgpr_count 6
		.amdhsa_user_sgpr_private_segment_buffer 1
		.amdhsa_user_sgpr_dispatch_ptr 0
		.amdhsa_user_sgpr_queue_ptr 0
		.amdhsa_user_sgpr_kernarg_segment_ptr 1
		.amdhsa_user_sgpr_dispatch_id 0
		.amdhsa_user_sgpr_flat_scratch_init 0
		.amdhsa_user_sgpr_kernarg_preload_length 0
		.amdhsa_user_sgpr_kernarg_preload_offset 0
		.amdhsa_user_sgpr_private_segment_size 0
		.amdhsa_uses_dynamic_stack 0
		.amdhsa_system_sgpr_private_segment_wavefront_offset 0
		.amdhsa_system_sgpr_workgroup_id_x 1
		.amdhsa_system_sgpr_workgroup_id_y 0
		.amdhsa_system_sgpr_workgroup_id_z 0
		.amdhsa_system_sgpr_workgroup_info 0
		.amdhsa_system_vgpr_workitem_id 0
		.amdhsa_next_free_vgpr 23
		.amdhsa_next_free_sgpr 15
		.amdhsa_accum_offset 24
		.amdhsa_reserve_vcc 1
		.amdhsa_reserve_flat_scratch 0
		.amdhsa_float_round_mode_32 0
		.amdhsa_float_round_mode_16_64 0
		.amdhsa_float_denorm_mode_32 3
		.amdhsa_float_denorm_mode_16_64 3
		.amdhsa_dx10_clamp 1
		.amdhsa_ieee_mode 1
		.amdhsa_fp16_overflow 0
		.amdhsa_tg_split 0
		.amdhsa_exception_fp_ieee_invalid_op 0
		.amdhsa_exception_fp_denorm_src 0
		.amdhsa_exception_fp_ieee_div_zero 0
		.amdhsa_exception_fp_ieee_overflow 0
		.amdhsa_exception_fp_ieee_underflow 0
		.amdhsa_exception_fp_ieee_inexact 0
		.amdhsa_exception_int_div_zero 0
	.end_amdhsa_kernel
	.section	.text._Z10fillColEllILi64EEviiPKiS1_PKdPiPd,"axG",@progbits,_Z10fillColEllILi64EEviiPKiS1_PKdPiPd,comdat
.Lfunc_end6:
	.size	_Z10fillColEllILi64EEviiPKiS1_PKdPiPd, .Lfunc_end6-_Z10fillColEllILi64EEviiPKiS1_PKdPiPd
                                        ; -- End function
	.section	.AMDGPU.csdata,"",@progbits
; Kernel info:
; codeLenInByte = 824
; NumSgprs: 19
; NumVgprs: 23
; NumAgprs: 0
; TotalNumVgprs: 23
; ScratchSize: 0
; MemoryBound: 0
; FloatMode: 240
; IeeeMode: 1
; LDSByteSize: 0 bytes/workgroup (compile time only)
; SGPRBlocks: 2
; VGPRBlocks: 2
; NumSGPRsForWavesPerEU: 19
; NumVGPRsForWavesPerEU: 23
; AccumOffset: 24
; Occupancy: 8
; WaveLimiterHint : 0
; COMPUTE_PGM_RSRC2:SCRATCH_EN: 0
; COMPUTE_PGM_RSRC2:USER_SGPR: 6
; COMPUTE_PGM_RSRC2:TRAP_HANDLER: 0
; COMPUTE_PGM_RSRC2:TGID_X_EN: 1
; COMPUTE_PGM_RSRC2:TGID_Y_EN: 0
; COMPUTE_PGM_RSRC2:TGID_Z_EN: 0
; COMPUTE_PGM_RSRC2:TIDIG_COMP_CNT: 0
; COMPUTE_PGM_RSRC3_GFX90A:ACCUM_OFFSET: 5
; COMPUTE_PGM_RSRC3_GFX90A:TG_SPLIT: 0
	.text
	.p2alignl 6, 3212836864
	.fill 256, 4, 3212836864
	.type	__hip_cuid_f6d37ce0884c9514,@object ; @__hip_cuid_f6d37ce0884c9514
	.section	.bss,"aw",@nobits
	.globl	__hip_cuid_f6d37ce0884c9514
__hip_cuid_f6d37ce0884c9514:
	.byte	0                               ; 0x0
	.size	__hip_cuid_f6d37ce0884c9514, 1

	.ident	"AMD clang version 19.0.0git (https://github.com/RadeonOpenCompute/llvm-project roc-6.4.0 25133 c7fe45cf4b819c5991fe208aaa96edf142730f1d)"
	.section	".note.GNU-stack","",@progbits
	.addrsig
	.addrsig_sym __hip_cuid_f6d37ce0884c9514
	.amdgpu_metadata
---
amdhsa.kernels:
  - .agpr_count:     0
    .args:
      - .offset:         0
        .size:           4
        .value_kind:     by_value
      - .offset:         4
        .size:           4
        .value_kind:     by_value
      - .actual_access:  read_only
        .address_space:  global
        .offset:         8
        .size:           8
        .value_kind:     global_buffer
      - .actual_access:  read_only
        .address_space:  global
        .offset:         16
        .size:           8
        .value_kind:     global_buffer
      - .actual_access:  read_only
        .address_space:  global
        .offset:         24
        .size:           8
        .value_kind:     global_buffer
      - .address_space:  global
        .offset:         32
        .size:           8
        .value_kind:     global_buffer
      - .offset:         40
        .size:           8
        .value_kind:     by_value
      - .offset:         48
        .size:           8
        .value_kind:     by_value
      - .offset:         56
        .size:           4
        .value_kind:     hidden_block_count_x
      - .offset:         60
        .size:           4
        .value_kind:     hidden_block_count_y
      - .offset:         64
        .size:           4
        .value_kind:     hidden_block_count_z
      - .offset:         68
        .size:           2
        .value_kind:     hidden_group_size_x
      - .offset:         70
        .size:           2
        .value_kind:     hidden_group_size_y
      - .offset:         72
        .size:           2
        .value_kind:     hidden_group_size_z
      - .offset:         74
        .size:           2
        .value_kind:     hidden_remainder_x
      - .offset:         76
        .size:           2
        .value_kind:     hidden_remainder_y
      - .offset:         78
        .size:           2
        .value_kind:     hidden_remainder_z
      - .offset:         96
        .size:           8
        .value_kind:     hidden_global_offset_x
      - .offset:         104
        .size:           8
        .value_kind:     hidden_global_offset_y
      - .offset:         112
        .size:           8
        .value_kind:     hidden_global_offset_z
      - .offset:         120
        .size:           2
        .value_kind:     hidden_grid_dims
    .group_segment_fixed_size: 0
    .kernarg_segment_align: 8
    .kernarg_segment_size: 312
    .language:       OpenCL C
    .language_version:
      - 2
      - 0
    .max_flat_workgroup_size: 1024
    .name:           _Z14ellpack_kerneliiPKiPKdS2_Pddd
    .private_segment_fixed_size: 0
    .sgpr_count:     21
    .sgpr_spill_count: 0
    .symbol:         _Z14ellpack_kerneliiPKiPKdS2_Pddd.kd
    .uniform_work_group_size: 1
    .uses_dynamic_stack: false
    .vgpr_count:     16
    .vgpr_spill_count: 0
    .wavefront_size: 64
  - .agpr_count:     0
    .args:
      - .offset:         0
        .size:           4
        .value_kind:     by_value
      - .offset:         4
        .size:           4
        .value_kind:     by_value
      - .actual_access:  read_only
        .address_space:  global
        .offset:         8
        .size:           8
        .value_kind:     global_buffer
      - .actual_access:  read_only
        .address_space:  global
        .offset:         16
        .size:           8
        .value_kind:     global_buffer
      - .actual_access:  read_only
        .address_space:  global
        .offset:         24
        .size:           8
        .value_kind:     global_buffer
      - .address_space:  global
        .offset:         32
        .size:           8
        .value_kind:     global_buffer
      - .address_space:  global
        .offset:         40
        .size:           8
        .value_kind:     global_buffer
      - .offset:         48
        .size:           4
        .value_kind:     hidden_block_count_x
      - .offset:         52
        .size:           4
        .value_kind:     hidden_block_count_y
      - .offset:         56
        .size:           4
        .value_kind:     hidden_block_count_z
      - .offset:         60
        .size:           2
        .value_kind:     hidden_group_size_x
      - .offset:         62
        .size:           2
        .value_kind:     hidden_group_size_y
      - .offset:         64
        .size:           2
        .value_kind:     hidden_group_size_z
      - .offset:         66
        .size:           2
        .value_kind:     hidden_remainder_x
      - .offset:         68
        .size:           2
        .value_kind:     hidden_remainder_y
      - .offset:         70
        .size:           2
        .value_kind:     hidden_remainder_z
      - .offset:         88
        .size:           8
        .value_kind:     hidden_global_offset_x
      - .offset:         96
        .size:           8
        .value_kind:     hidden_global_offset_y
      - .offset:         104
        .size:           8
        .value_kind:     hidden_global_offset_z
      - .offset:         112
        .size:           2
        .value_kind:     hidden_grid_dims
    .group_segment_fixed_size: 0
    .kernarg_segment_align: 8
    .kernarg_segment_size: 304
    .language:       OpenCL C
    .language_version:
      - 2
      - 0
    .max_flat_workgroup_size: 1024
    .name:           _Z10fillColEllILi2EEviiPKiS1_PKdPiPd
    .private_segment_fixed_size: 0
    .sgpr_count:     24
    .sgpr_spill_count: 0
    .symbol:         _Z10fillColEllILi2EEviiPKiS1_PKdPiPd.kd
    .uniform_work_group_size: 1
    .uses_dynamic_stack: false
    .vgpr_count:     23
    .vgpr_spill_count: 0
    .wavefront_size: 64
  - .agpr_count:     0
    .args:
      - .offset:         0
        .size:           4
        .value_kind:     by_value
      - .offset:         4
        .size:           4
        .value_kind:     by_value
      - .actual_access:  read_only
        .address_space:  global
        .offset:         8
        .size:           8
        .value_kind:     global_buffer
      - .actual_access:  read_only
        .address_space:  global
        .offset:         16
        .size:           8
        .value_kind:     global_buffer
      - .actual_access:  read_only
        .address_space:  global
        .offset:         24
        .size:           8
        .value_kind:     global_buffer
      - .address_space:  global
        .offset:         32
        .size:           8
        .value_kind:     global_buffer
      - .address_space:  global
        .offset:         40
        .size:           8
        .value_kind:     global_buffer
      - .offset:         48
        .size:           4
        .value_kind:     hidden_block_count_x
      - .offset:         52
        .size:           4
        .value_kind:     hidden_block_count_y
      - .offset:         56
        .size:           4
        .value_kind:     hidden_block_count_z
      - .offset:         60
        .size:           2
        .value_kind:     hidden_group_size_x
      - .offset:         62
        .size:           2
        .value_kind:     hidden_group_size_y
      - .offset:         64
        .size:           2
        .value_kind:     hidden_group_size_z
      - .offset:         66
        .size:           2
        .value_kind:     hidden_remainder_x
      - .offset:         68
        .size:           2
        .value_kind:     hidden_remainder_y
      - .offset:         70
        .size:           2
        .value_kind:     hidden_remainder_z
      - .offset:         88
        .size:           8
        .value_kind:     hidden_global_offset_x
      - .offset:         96
        .size:           8
        .value_kind:     hidden_global_offset_y
      - .offset:         104
        .size:           8
        .value_kind:     hidden_global_offset_z
      - .offset:         112
        .size:           2
        .value_kind:     hidden_grid_dims
    .group_segment_fixed_size: 0
    .kernarg_segment_align: 8
    .kernarg_segment_size: 304
    .language:       OpenCL C
    .language_version:
      - 2
      - 0
    .max_flat_workgroup_size: 1024
    .name:           _Z10fillColEllILi4EEviiPKiS1_PKdPiPd
    .private_segment_fixed_size: 0
    .sgpr_count:     24
    .sgpr_spill_count: 0
    .symbol:         _Z10fillColEllILi4EEviiPKiS1_PKdPiPd.kd
    .uniform_work_group_size: 1
    .uses_dynamic_stack: false
    .vgpr_count:     23
    .vgpr_spill_count: 0
    .wavefront_size: 64
  - .agpr_count:     0
    .args:
      - .offset:         0
        .size:           4
        .value_kind:     by_value
      - .offset:         4
        .size:           4
        .value_kind:     by_value
      - .actual_access:  read_only
        .address_space:  global
        .offset:         8
        .size:           8
        .value_kind:     global_buffer
      - .actual_access:  read_only
        .address_space:  global
        .offset:         16
        .size:           8
        .value_kind:     global_buffer
      - .actual_access:  read_only
        .address_space:  global
        .offset:         24
        .size:           8
        .value_kind:     global_buffer
      - .address_space:  global
        .offset:         32
        .size:           8
        .value_kind:     global_buffer
      - .address_space:  global
        .offset:         40
        .size:           8
        .value_kind:     global_buffer
      - .offset:         48
        .size:           4
        .value_kind:     hidden_block_count_x
      - .offset:         52
        .size:           4
        .value_kind:     hidden_block_count_y
      - .offset:         56
        .size:           4
        .value_kind:     hidden_block_count_z
      - .offset:         60
        .size:           2
        .value_kind:     hidden_group_size_x
      - .offset:         62
        .size:           2
        .value_kind:     hidden_group_size_y
      - .offset:         64
        .size:           2
        .value_kind:     hidden_group_size_z
      - .offset:         66
        .size:           2
        .value_kind:     hidden_remainder_x
      - .offset:         68
        .size:           2
        .value_kind:     hidden_remainder_y
      - .offset:         70
        .size:           2
        .value_kind:     hidden_remainder_z
      - .offset:         88
        .size:           8
        .value_kind:     hidden_global_offset_x
      - .offset:         96
        .size:           8
        .value_kind:     hidden_global_offset_y
      - .offset:         104
        .size:           8
        .value_kind:     hidden_global_offset_z
      - .offset:         112
        .size:           2
        .value_kind:     hidden_grid_dims
    .group_segment_fixed_size: 0
    .kernarg_segment_align: 8
    .kernarg_segment_size: 304
    .language:       OpenCL C
    .language_version:
      - 2
      - 0
    .max_flat_workgroup_size: 1024
    .name:           _Z10fillColEllILi8EEviiPKiS1_PKdPiPd
    .private_segment_fixed_size: 0
    .sgpr_count:     24
    .sgpr_spill_count: 0
    .symbol:         _Z10fillColEllILi8EEviiPKiS1_PKdPiPd.kd
    .uniform_work_group_size: 1
    .uses_dynamic_stack: false
    .vgpr_count:     23
    .vgpr_spill_count: 0
    .wavefront_size: 64
  - .agpr_count:     0
    .args:
      - .offset:         0
        .size:           4
        .value_kind:     by_value
      - .offset:         4
        .size:           4
        .value_kind:     by_value
      - .actual_access:  read_only
        .address_space:  global
        .offset:         8
        .size:           8
        .value_kind:     global_buffer
      - .actual_access:  read_only
        .address_space:  global
        .offset:         16
        .size:           8
        .value_kind:     global_buffer
      - .actual_access:  read_only
        .address_space:  global
        .offset:         24
        .size:           8
        .value_kind:     global_buffer
      - .address_space:  global
        .offset:         32
        .size:           8
        .value_kind:     global_buffer
      - .address_space:  global
        .offset:         40
        .size:           8
        .value_kind:     global_buffer
      - .offset:         48
        .size:           4
        .value_kind:     hidden_block_count_x
      - .offset:         52
        .size:           4
        .value_kind:     hidden_block_count_y
      - .offset:         56
        .size:           4
        .value_kind:     hidden_block_count_z
      - .offset:         60
        .size:           2
        .value_kind:     hidden_group_size_x
      - .offset:         62
        .size:           2
        .value_kind:     hidden_group_size_y
      - .offset:         64
        .size:           2
        .value_kind:     hidden_group_size_z
      - .offset:         66
        .size:           2
        .value_kind:     hidden_remainder_x
      - .offset:         68
        .size:           2
        .value_kind:     hidden_remainder_y
      - .offset:         70
        .size:           2
        .value_kind:     hidden_remainder_z
      - .offset:         88
        .size:           8
        .value_kind:     hidden_global_offset_x
      - .offset:         96
        .size:           8
        .value_kind:     hidden_global_offset_y
      - .offset:         104
        .size:           8
        .value_kind:     hidden_global_offset_z
      - .offset:         112
        .size:           2
        .value_kind:     hidden_grid_dims
    .group_segment_fixed_size: 0
    .kernarg_segment_align: 8
    .kernarg_segment_size: 304
    .language:       OpenCL C
    .language_version:
      - 2
      - 0
    .max_flat_workgroup_size: 1024
    .name:           _Z10fillColEllILi16EEviiPKiS1_PKdPiPd
    .private_segment_fixed_size: 0
    .sgpr_count:     24
    .sgpr_spill_count: 0
    .symbol:         _Z10fillColEllILi16EEviiPKiS1_PKdPiPd.kd
    .uniform_work_group_size: 1
    .uses_dynamic_stack: false
    .vgpr_count:     23
    .vgpr_spill_count: 0
    .wavefront_size: 64
  - .agpr_count:     0
    .args:
      - .offset:         0
        .size:           4
        .value_kind:     by_value
      - .offset:         4
        .size:           4
        .value_kind:     by_value
      - .actual_access:  read_only
        .address_space:  global
        .offset:         8
        .size:           8
        .value_kind:     global_buffer
      - .actual_access:  read_only
        .address_space:  global
        .offset:         16
        .size:           8
        .value_kind:     global_buffer
      - .actual_access:  read_only
        .address_space:  global
        .offset:         24
        .size:           8
        .value_kind:     global_buffer
      - .address_space:  global
        .offset:         32
        .size:           8
        .value_kind:     global_buffer
      - .address_space:  global
        .offset:         40
        .size:           8
        .value_kind:     global_buffer
      - .offset:         48
        .size:           4
        .value_kind:     hidden_block_count_x
      - .offset:         52
        .size:           4
        .value_kind:     hidden_block_count_y
      - .offset:         56
        .size:           4
        .value_kind:     hidden_block_count_z
      - .offset:         60
        .size:           2
        .value_kind:     hidden_group_size_x
      - .offset:         62
        .size:           2
        .value_kind:     hidden_group_size_y
      - .offset:         64
        .size:           2
        .value_kind:     hidden_group_size_z
      - .offset:         66
        .size:           2
        .value_kind:     hidden_remainder_x
      - .offset:         68
        .size:           2
        .value_kind:     hidden_remainder_y
      - .offset:         70
        .size:           2
        .value_kind:     hidden_remainder_z
      - .offset:         88
        .size:           8
        .value_kind:     hidden_global_offset_x
      - .offset:         96
        .size:           8
        .value_kind:     hidden_global_offset_y
      - .offset:         104
        .size:           8
        .value_kind:     hidden_global_offset_z
      - .offset:         112
        .size:           2
        .value_kind:     hidden_grid_dims
    .group_segment_fixed_size: 0
    .kernarg_segment_align: 8
    .kernarg_segment_size: 304
    .language:       OpenCL C
    .language_version:
      - 2
      - 0
    .max_flat_workgroup_size: 1024
    .name:           _Z10fillColEllILi32EEviiPKiS1_PKdPiPd
    .private_segment_fixed_size: 0
    .sgpr_count:     19
    .sgpr_spill_count: 0
    .symbol:         _Z10fillColEllILi32EEviiPKiS1_PKdPiPd.kd
    .uniform_work_group_size: 1
    .uses_dynamic_stack: false
    .vgpr_count:     23
    .vgpr_spill_count: 0
    .wavefront_size: 64
  - .agpr_count:     0
    .args:
      - .offset:         0
        .size:           4
        .value_kind:     by_value
      - .offset:         4
        .size:           4
        .value_kind:     by_value
      - .actual_access:  read_only
        .address_space:  global
        .offset:         8
        .size:           8
        .value_kind:     global_buffer
      - .actual_access:  read_only
        .address_space:  global
        .offset:         16
        .size:           8
        .value_kind:     global_buffer
      - .actual_access:  read_only
        .address_space:  global
        .offset:         24
        .size:           8
        .value_kind:     global_buffer
      - .address_space:  global
        .offset:         32
        .size:           8
        .value_kind:     global_buffer
      - .address_space:  global
        .offset:         40
        .size:           8
        .value_kind:     global_buffer
      - .offset:         48
        .size:           4
        .value_kind:     hidden_block_count_x
      - .offset:         52
        .size:           4
        .value_kind:     hidden_block_count_y
      - .offset:         56
        .size:           4
        .value_kind:     hidden_block_count_z
      - .offset:         60
        .size:           2
        .value_kind:     hidden_group_size_x
      - .offset:         62
        .size:           2
        .value_kind:     hidden_group_size_y
      - .offset:         64
        .size:           2
        .value_kind:     hidden_group_size_z
      - .offset:         66
        .size:           2
        .value_kind:     hidden_remainder_x
      - .offset:         68
        .size:           2
        .value_kind:     hidden_remainder_y
      - .offset:         70
        .size:           2
        .value_kind:     hidden_remainder_z
      - .offset:         88
        .size:           8
        .value_kind:     hidden_global_offset_x
      - .offset:         96
        .size:           8
        .value_kind:     hidden_global_offset_y
      - .offset:         104
        .size:           8
        .value_kind:     hidden_global_offset_z
      - .offset:         112
        .size:           2
        .value_kind:     hidden_grid_dims
    .group_segment_fixed_size: 0
    .kernarg_segment_align: 8
    .kernarg_segment_size: 304
    .language:       OpenCL C
    .language_version:
      - 2
      - 0
    .max_flat_workgroup_size: 1024
    .name:           _Z10fillColEllILi64EEviiPKiS1_PKdPiPd
    .private_segment_fixed_size: 0
    .sgpr_count:     19
    .sgpr_spill_count: 0
    .symbol:         _Z10fillColEllILi64EEviiPKiS1_PKdPiPd.kd
    .uniform_work_group_size: 1
    .uses_dynamic_stack: false
    .vgpr_count:     23
    .vgpr_spill_count: 0
    .wavefront_size: 64
amdhsa.target:   amdgcn-amd-amdhsa--gfx90a
amdhsa.version:
  - 1
  - 2
...

	.end_amdgpu_metadata
